;; amdgpu-corpus repo=ROCm/rocFFT kind=compiled arch=gfx1201 opt=O3
	.text
	.amdgcn_target "amdgcn-amd-amdhsa--gfx1201"
	.amdhsa_code_object_version 6
	.protected	bluestein_single_back_len715_dim1_half_op_CI_CI ; -- Begin function bluestein_single_back_len715_dim1_half_op_CI_CI
	.globl	bluestein_single_back_len715_dim1_half_op_CI_CI
	.p2align	8
	.type	bluestein_single_back_len715_dim1_half_op_CI_CI,@function
bluestein_single_back_len715_dim1_half_op_CI_CI: ; @bluestein_single_back_len715_dim1_half_op_CI_CI
; %bb.0:
	s_load_b128 s[8:11], s[0:1], 0x28
	v_mul_u32_u24_e32 v1, 0x3f1, v0
	s_mov_b32 s2, exec_lo
	s_delay_alu instid0(VALU_DEP_1) | instskip(NEXT) | instid1(VALU_DEP_1)
	v_lshrrev_b32_e32 v1, 16, v1
	v_mad_co_u64_u32 v[20:21], null, ttmp9, 3, v[1:2]
	v_mov_b32_e32 v21, 0
                                        ; kill: def $vgpr2 killed $sgpr0 killed $exec
	s_wait_kmcnt 0x0
	s_delay_alu instid0(VALU_DEP_1)
	v_cmpx_gt_u64_e64 s[8:9], v[20:21]
	s_cbranch_execz .LBB0_23
; %bb.1:
	v_mul_hi_u32 v2, 0xaaaaaaab, v20
	s_clause 0x1
	s_load_b64 s[20:21], s[0:1], 0x0
	s_load_b64 s[8:9], s[0:1], 0x38
	v_mul_lo_u16 v1, 0x41, v1
	s_delay_alu instid0(VALU_DEP_1) | instskip(NEXT) | instid1(VALU_DEP_3)
	v_sub_nc_u16 v0, v0, v1
	v_lshrrev_b32_e32 v2, 1, v2
	s_delay_alu instid0(VALU_DEP_2) | instskip(NEXT) | instid1(VALU_DEP_2)
	v_and_b32_e32 v40, 0xffff, v0
	v_lshl_add_u32 v2, v2, 1, v2
	v_cmp_gt_u16_e32 vcc_lo, 55, v0
	s_delay_alu instid0(VALU_DEP_3) | instskip(NEXT) | instid1(VALU_DEP_3)
	v_lshlrev_b32_e32 v39, 2, v40
	v_sub_nc_u32_e32 v1, v20, v2
	s_delay_alu instid0(VALU_DEP_1) | instskip(NEXT) | instid1(VALU_DEP_1)
	v_mul_u32_u24_e32 v27, 0x2cb, v1
	v_lshlrev_b32_e32 v41, 2, v27
	s_and_saveexec_b32 s3, vcc_lo
	s_cbranch_execz .LBB0_3
; %bb.2:
	s_load_b64 s[4:5], s[0:1], 0x18
	s_wait_kmcnt 0x0
	s_load_b128 s[4:7], s[4:5], 0x0
	s_wait_kmcnt 0x0
	v_mad_co_u64_u32 v[0:1], null, s6, v20, 0
	v_mad_co_u64_u32 v[2:3], null, s4, v40, 0
	s_delay_alu instid0(VALU_DEP_1) | instskip(NEXT) | instid1(VALU_DEP_1)
	v_mad_co_u64_u32 v[4:5], null, s7, v20, v[1:2]
	v_mad_co_u64_u32 v[5:6], null, s5, v40, v[3:4]
	v_mov_b32_e32 v1, v4
	s_mul_u64 s[4:5], s[4:5], 0xdc
	s_delay_alu instid0(VALU_DEP_1) | instskip(NEXT) | instid1(VALU_DEP_3)
	v_lshlrev_b64_e32 v[0:1], 2, v[0:1]
	v_mov_b32_e32 v3, v5
	s_clause 0x7
	global_load_b32 v4, v39, s[20:21]
	global_load_b32 v5, v39, s[20:21] offset:220
	global_load_b32 v6, v39, s[20:21] offset:440
	;; [unrolled: 1-line block ×7, first 2 shown]
	v_add_co_u32 v0, s2, s10, v0
	v_lshlrev_b64_e32 v[2:3], 2, v[2:3]
	v_add_co_ci_u32_e64 v1, s2, s11, v1, s2
	s_delay_alu instid0(VALU_DEP_2) | instskip(SKIP_1) | instid1(VALU_DEP_2)
	v_add_co_u32 v0, s2, v0, v2
	s_wait_alu 0xf1ff
	v_add_co_ci_u32_e64 v1, s2, v1, v3, s2
	global_load_b32 v12, v[0:1], off
	s_wait_alu 0xfffe
	v_add_co_u32 v0, s2, v0, s4
	s_wait_alu 0xf1ff
	v_add_co_ci_u32_e64 v1, s2, s5, v1, s2
	s_clause 0x4
	global_load_b32 v13, v39, s[20:21] offset:1760
	global_load_b32 v14, v39, s[20:21] offset:1980
	;; [unrolled: 1-line block ×5, first 2 shown]
	v_add_co_u32 v2, s2, v0, s4
	s_wait_alu 0xf1ff
	v_add_co_ci_u32_e64 v3, s2, s5, v1, s2
	global_load_b32 v18, v[0:1], off
	v_add_co_u32 v0, s2, v2, s4
	s_wait_alu 0xf1ff
	v_add_co_ci_u32_e64 v1, s2, s5, v3, s2
	s_clause 0x1
	global_load_b32 v19, v[2:3], off
	global_load_b32 v21, v[0:1], off
	v_add_co_u32 v0, s2, v0, s4
	s_wait_alu 0xf1ff
	v_add_co_ci_u32_e64 v1, s2, s5, v1, s2
	s_delay_alu instid0(VALU_DEP_2) | instskip(SKIP_1) | instid1(VALU_DEP_2)
	v_add_co_u32 v2, s2, v0, s4
	s_wait_alu 0xf1ff
	v_add_co_ci_u32_e64 v3, s2, s5, v1, s2
	global_load_b32 v22, v[0:1], off
	v_add_co_u32 v0, s2, v2, s4
	s_wait_alu 0xf1ff
	v_add_co_ci_u32_e64 v1, s2, s5, v3, s2
	global_load_b32 v23, v[2:3], off
	global_load_b32 v24, v[0:1], off
	v_add_co_u32 v0, s2, v0, s4
	s_wait_alu 0xf1ff
	v_add_co_ci_u32_e64 v1, s2, s5, v1, s2
	s_delay_alu instid0(VALU_DEP_2) | instskip(SKIP_1) | instid1(VALU_DEP_2)
	v_add_co_u32 v2, s2, v0, s4
	s_wait_alu 0xf1ff
	v_add_co_ci_u32_e64 v3, s2, s5, v1, s2
	global_load_b32 v25, v[0:1], off
	v_add_co_u32 v0, s2, v2, s4
	s_wait_alu 0xf1ff
	v_add_co_ci_u32_e64 v1, s2, s5, v3, s2
	global_load_b32 v26, v[2:3], off
	;; [unrolled: 4-line block ×5, first 2 shown]
	global_load_b32 v1, v[2:3], off
	v_lshl_add_u32 v3, v40, 2, v41
	v_add_nc_u32_e32 v2, v41, v39
	s_delay_alu instid0(VALU_DEP_1)
	v_add_nc_u32_e32 v30, 0x400, v2
	v_add_nc_u32_e32 v31, 0x600, v2
	s_wait_loadcnt 0x19
	v_lshrrev_b32_e32 v32, 16, v4
	s_wait_loadcnt 0x18
	v_lshrrev_b32_e32 v33, 16, v5
	;; [unrolled: 2-line block ×9, first 2 shown]
	v_mul_f16_e32 v47, v32, v12
	s_wait_loadcnt 0x10
	v_lshrrev_b32_e32 v43, 16, v13
	s_wait_loadcnt 0xf
	v_lshrrev_b32_e32 v45, 16, v14
	s_wait_loadcnt 0xe
	v_lshrrev_b32_e32 v46, 16, v15
	v_mul_f16_e32 v32, v32, v44
	v_fma_f16 v44, v4, v44, -v47
	s_wait_loadcnt 0xd
	v_lshrrev_b32_e32 v48, 16, v16
	s_wait_loadcnt 0xc
	v_lshrrev_b32_e32 v50, 16, v17
	;; [unrolled: 2-line block ×3, first 2 shown]
	v_mul_f16_e32 v47, v33, v18
	v_fmac_f16_e32 v32, v4, v12
	s_delay_alu instid0(VALU_DEP_3)
	v_mul_f16_e32 v4, v33, v49
	s_wait_loadcnt 0xa
	v_lshrrev_b32_e32 v12, 16, v19
	v_mul_f16_e32 v33, v34, v19
	v_fma_f16 v47, v5, v49, -v47
	v_pack_b32_f16 v32, v32, v44
	v_fmac_f16_e32 v4, v5, v18
	v_mul_f16_e32 v5, v34, v12
	s_wait_loadcnt 0x9
	v_lshrrev_b32_e32 v18, 16, v21
	v_fma_f16 v12, v6, v12, -v33
	v_mul_f16_e32 v33, v35, v21
	ds_store_b32 v3, v32
	v_pack_b32_f16 v3, v4, v47
	v_fmac_f16_e32 v5, v6, v19
	v_mul_f16_e32 v4, v35, v18
	s_wait_loadcnt 0x8
	v_lshrrev_b32_e32 v6, 16, v22
	v_mul_f16_e32 v19, v36, v22
	v_fma_f16 v18, v7, v18, -v33
	v_pack_b32_f16 v5, v5, v12
	v_fmac_f16_e32 v4, v7, v21
	v_mul_f16_e32 v7, v36, v6
	s_wait_loadcnt 0x7
	v_lshrrev_b32_e32 v12, 16, v23
	v_fma_f16 v6, v8, v6, -v19
	v_mul_f16_e32 v19, v37, v23
	ds_store_2addr_b32 v2, v3, v5 offset0:55 offset1:110
	v_pack_b32_f16 v3, v4, v18
	v_fmac_f16_e32 v7, v8, v22
	v_mul_f16_e32 v4, v37, v12
	s_wait_loadcnt 0x6
	v_lshrrev_b32_e32 v5, 16, v24
	v_fma_f16 v8, v9, v12, -v19
	v_mul_f16_e32 v12, v38, v24
	v_pack_b32_f16 v6, v7, v6
	v_fmac_f16_e32 v4, v9, v23
	v_mul_f16_e32 v7, v38, v5
	s_wait_loadcnt 0x5
	v_lshrrev_b32_e32 v9, 16, v25
	v_mul_f16_e32 v18, v42, v25
	v_fma_f16 v5, v10, v5, -v12
	v_pack_b32_f16 v4, v4, v8
	v_fmac_f16_e32 v7, v10, v24
	v_mul_f16_e32 v8, v42, v9
	s_wait_loadcnt 0x4
	v_lshrrev_b32_e32 v10, 16, v26
	v_fma_f16 v9, v11, v9, -v18
	v_mul_f16_e32 v12, v43, v26
	v_pack_b32_f16 v5, v7, v5
	v_fmac_f16_e32 v8, v11, v25
	s_wait_loadcnt 0x3
	v_lshrrev_b32_e32 v7, 16, v28
	v_mul_f16_e32 v11, v43, v10
	v_fma_f16 v10, v13, v10, -v12
	v_mul_f16_e32 v12, v45, v28
	v_pack_b32_f16 v8, v8, v9
	v_mul_f16_e32 v9, v45, v7
	v_fmac_f16_e32 v11, v13, v26
	s_wait_loadcnt 0x2
	v_lshrrev_b32_e32 v13, 16, v29
	v_fma_f16 v7, v14, v7, -v12
	v_mul_f16_e32 v12, v46, v29
	v_fmac_f16_e32 v9, v14, v28
	s_wait_loadcnt 0x1
	v_lshrrev_b32_e32 v14, 16, v0
	s_wait_loadcnt 0x0
	v_lshrrev_b32_e32 v19, 16, v1
	v_mul_f16_e32 v18, v46, v13
	v_fma_f16 v12, v15, v13, -v12
	v_mul_f16_e32 v13, v48, v0
	v_mul_f16_e32 v21, v48, v14
	;; [unrolled: 1-line block ×4, first 2 shown]
	v_fmac_f16_e32 v18, v15, v29
	v_fma_f16 v13, v16, v14, -v13
	v_fmac_f16_e32 v21, v16, v0
	v_fma_f16 v0, v17, v19, -v22
	v_fmac_f16_e32 v23, v17, v1
	v_pack_b32_f16 v1, v11, v10
	v_pack_b32_f16 v7, v9, v7
	;; [unrolled: 1-line block ×5, first 2 shown]
	v_add_nc_u32_e32 v11, 0x800, v2
	ds_store_2addr_b32 v2, v3, v6 offset0:165 offset1:220
	ds_store_2addr_b32 v30, v4, v5 offset0:19 offset1:74
	;; [unrolled: 1-line block ×5, first 2 shown]
.LBB0_3:
	s_or_b32 exec_lo, exec_lo, s3
	v_mov_b32_e32 v4, 0
                                        ; kill: def $vgpr0 killed $sgpr0 killed $exec
	global_wb scope:SCOPE_SE
	s_wait_dscnt 0x0
	s_wait_kmcnt 0x0
	s_barrier_signal -1
	s_barrier_wait -1
	global_inv scope:SCOPE_SE
                                        ; implicit-def: $vgpr15
                                        ; implicit-def: $vgpr1
                                        ; implicit-def: $vgpr3
                                        ; implicit-def: $vgpr7
                                        ; implicit-def: $vgpr9
                                        ; implicit-def: $vgpr11
	s_and_saveexec_b32 s2, vcc_lo
	s_cbranch_execz .LBB0_5
; %bb.4:
	v_lshl_add_u32 v12, v27, 2, v39
	s_delay_alu instid0(VALU_DEP_1)
	v_add_nc_u32_e32 v0, 0x200, v12
	v_add_nc_u32_e32 v1, 0x400, v12
	;; [unrolled: 1-line block ×3, first 2 shown]
	ds_load_2addr_b32 v[4:5], v12 offset1:55
	ds_load_2addr_b32 v[10:11], v12 offset0:110 offset1:165
	ds_load_2addr_b32 v[8:9], v0 offset0:92 offset1:147
	ds_load_2addr_b32 v[6:7], v1 offset0:74 offset1:129
	ds_load_2addr_b32 v[2:3], v1 offset0:184 offset1:239
	ds_load_2addr_b32 v[0:1], v13 offset0:38 offset1:93
	ds_load_b32 v15, v12 offset:2640
.LBB0_5:
	s_wait_alu 0xfffe
	s_or_b32 exec_lo, exec_lo, s2
	s_wait_dscnt 0x0
	v_pk_add_f16 v16, v5, v15 neg_lo:[0,1] neg_hi:[0,1]
	v_pk_add_f16 v18, v15, v5
	v_pk_add_f16 v17, v10, v1 neg_lo:[0,1] neg_hi:[0,1]
	v_pk_add_f16 v19, v1, v10
	v_lshrrev_b32_e32 v24, 16, v4
	v_lshrrev_b32_e32 v70, 16, v16
	;; [unrolled: 1-line block ×3, first 2 shown]
	v_mul_f16_e32 v54, 0xba95, v16
	v_lshrrev_b32_e32 v72, 16, v17
	v_lshrrev_b32_e32 v34, 16, v19
	v_mul_f16_e32 v61, 0xbbf1, v70
	v_mul_f16_e32 v42, 0xb770, v70
	v_fma_f16 v14, v33, 0x388b, -v54
	v_mul_f16_e32 v44, 0xba95, v72
	v_mul_f16_e32 v58, 0xbb7b, v17
	v_fmamk_f16 v21, v18, 0x2fb7, v61
	v_fmamk_f16 v13, v18, 0x3b15, v42
	v_mul_f16_e32 v67, 0xb3a8, v72
	v_fmamk_f16 v22, v19, 0x388b, v44
	v_add_f16_e32 v14, v14, v24
	v_add_f16_e32 v23, v21, v4
	v_pk_add_f16 v21, v11, v0 neg_lo:[0,1] neg_hi:[0,1]
	v_add_f16_e32 v13, v13, v4
	v_fma_f16 v26, v34, 0xb5ac, -v58
	v_fmamk_f16 v28, v19, 0xbbc4, v67
	v_pk_mul_f16 v12, 0x3b15388b, v18
	v_lshrrev_b32_e32 v73, 16, v21
	v_mul_f16_e32 v68, 0xbbf1, v16
	v_add_f16_e32 v13, v22, v13
	v_pk_add_f16 v22, v0, v11
	v_add_f16_e32 v14, v26, v14
	v_mul_f16_e32 v47, 0xbbf1, v73
	v_add_f16_e32 v26, v28, v23
	v_pk_add_f16 v23, v8, v3 neg_lo:[0,1] neg_hi:[0,1]
	v_pk_fma_f16 v45, 0xba95b770, v16, v12 op_sel:[0,0,1] op_sel_hi:[1,1,0] neg_lo:[0,1,0] neg_hi:[0,1,0]
	v_pk_fma_f16 v46, 0xba95b770, v16, v12 op_sel:[0,0,1] op_sel_hi:[1,1,0]
	v_fma_f16 v12, v33, 0x2fb7, -v68
	v_pk_mul_f16 v25, 0x388bb5ac, v19
	v_mul_f16_e32 v74, 0xb3a8, v17
	v_fmamk_f16 v30, v22, 0x2fb7, v47
	v_mul_f16_e32 v71, 0x3b7b, v73
	v_lshrrev_b32_e32 v78, 16, v23
	v_add_f16_e32 v12, v12, v24
	v_pk_fma_f16 v48, 0xbb7bba95, v17, v25 op_sel:[0,0,1] op_sel_hi:[1,1,0] neg_lo:[0,1,0] neg_hi:[0,1,0]
	v_fma_f16 v29, v34, 0xbbc4, -v74
	v_pk_fma_f16 v49, 0xbb7bba95, v17, v25 op_sel:[0,0,1] op_sel_hi:[1,1,0]
	v_add_f16_e32 v13, v30, v13
	v_pk_mul_f16 v28, 0x2fb7bbc4, v22
	v_lshrrev_b32_e32 v35, 16, v22
	v_mul_f16_e32 v63, 0xb3a8, v21
	v_fmamk_f16 v30, v22, 0xb5ac, v71
	v_pk_add_f16 v25, v3, v8
	v_mul_f16_e32 v52, 0xbb7b, v78
	v_add_f16_e32 v12, v29, v12
	v_pk_fma_f16 v51, 0xb3a8bbf1, v21, v28 op_sel:[0,0,1] op_sel_hi:[1,1,0] neg_lo:[0,1,0] neg_hi:[0,1,0]
	v_mul_f16_e32 v80, 0x3b7b, v21
	v_fma_f16 v29, v35, 0xbbc4, -v63
	v_pk_fma_f16 v53, 0xb3a8bbf1, v21, v28 op_sel:[0,0,1] op_sel_hi:[1,1,0]
	v_add_f16_e32 v28, v30, v26
	v_fmamk_f16 v26, v25, 0xb5ac, v52
	v_fma_f16 v31, v35, 0xb5ac, -v80
	v_add_f16_e32 v14, v29, v14
	v_pk_mul_f16 v29, 0xb5acb9fd, v25
	v_lshrrev_b32_e32 v37, 16, v25
	v_mul_f16_e32 v64, 0x394e, v23
	v_add_f16_e32 v13, v26, v13
	v_pk_add_f16 v26, v9, v2 neg_lo:[0,1] neg_hi:[0,1]
	v_add_f16_e32 v12, v31, v12
	v_pk_fma_f16 v56, 0x394ebb7b, v23, v29 op_sel:[0,0,1] op_sel_hi:[1,1,0] neg_lo:[0,1,0] neg_hi:[0,1,0]
	v_pk_fma_f16 v57, 0x394ebb7b, v23, v29 op_sel:[0,0,1] op_sel_hi:[1,1,0]
	v_fma_f16 v29, v37, 0xb9fd, -v64
	v_mul_f16_e32 v75, 0x3770, v78
	v_lshrrev_b32_e32 v77, 16, v26
	v_mul_f16_e32 v82, 0x3770, v23
	v_pk_add_f16 v31, v2, v9
	v_add_f16_e32 v14, v29, v14
	v_fmamk_f16 v29, v25, 0x3b15, v75
	v_mul_f16_e32 v55, 0xb94e, v77
	v_fma_f16 v30, v37, 0x3b15, -v82
	v_lshrrev_b32_e32 v38, 16, v31
	v_mul_f16_e32 v69, 0x3bf1, v26
	v_add_f16_e32 v28, v29, v28
	v_fmamk_f16 v29, v31, 0xb9fd, v55
	v_pk_mul_f16 v32, 0xb9fd2fb7, v31
	v_add_f16_e32 v12, v30, v12
	v_fma_f16 v30, v38, 0x2fb7, -v69
	v_mul_f16_e32 v76, 0xba95, v77
	v_add_f16_e32 v13, v29, v13
	v_pk_fma_f16 v59, 0x3bf1b94e, v26, v32 op_sel:[0,0,1] op_sel_hi:[1,1,0] neg_lo:[0,1,0] neg_hi:[0,1,0]
	v_pk_fma_f16 v60, 0x3bf1b94e, v26, v32 op_sel:[0,0,1] op_sel_hi:[1,1,0]
	v_add_f16_e32 v30, v30, v14
	v_fmamk_f16 v14, v31, 0x388b, v76
	v_pk_add_f16 v32, v6, v7 neg_lo:[0,1] neg_hi:[0,1]
	v_add_f16_e32 v29, v45, v24
	v_lshrrev_b32_e32 v36, 16, v46
	v_mul_f16_e32 v84, 0xba95, v26
	v_add_f16_e32 v28, v14, v28
	v_lshrrev_b32_e32 v79, 16, v32
	v_add_f16_e32 v14, v48, v29
	v_add_f16_e32 v29, v36, v4
	v_lshrrev_b32_e32 v43, 16, v49
	v_fma_f16 v50, v38, 0x388b, -v84
	v_pk_add_f16 v36, v7, v6
	v_mul_f16_e32 v62, 0xb3a8, v79
	v_add_f16_e32 v14, v51, v14
	v_add_f16_e32 v29, v43, v29
	v_lshrrev_b32_e32 v43, 16, v53
	s_clause 0x1
	s_load_b64 s[4:5], s[0:1], 0x20
	s_load_b64 s[2:3], s[0:1], 0x8
	v_add_f16_e32 v86, v50, v12
	v_fmamk_f16 v12, v36, 0xbbc4, v62
	v_pk_mul_f16 v66, 0xbbc43b15, v36
	v_add_f16_e32 v50, v56, v14
	v_add_f16_e32 v29, v43, v29
	v_lshrrev_b32_e32 v43, 16, v57
	v_add_f16_e32 v14, v12, v13
	v_pk_fma_f16 v65, 0x3770b3a8, v32, v66 op_sel:[0,0,1] op_sel_hi:[1,1,0] neg_lo:[0,1,0] neg_hi:[0,1,0]
	v_add_f16_e32 v12, v59, v50
	v_lshrrev_b32_e32 v50, 16, v36
	v_add_f16_e32 v13, v43, v29
	v_lshrrev_b32_e32 v29, 16, v60
	v_pk_fma_f16 v66, 0x3770b3a8, v32, v66 op_sel:[0,0,1] op_sel_hi:[1,1,0]
	v_mul_f16_e32 v81, 0x3770, v32
	v_mul_f16_e32 v83, 0xb94e, v79
	;; [unrolled: 1-line block ×3, first 2 shown]
	v_add_f16_e32 v13, v29, v13
	v_lshrrev_b32_e32 v43, 16, v66
	v_fma_f16 v87, v50, 0x3b15, -v81
	v_fmamk_f16 v88, v36, 0xb9fd, v83
	v_fma_f16 v89, v50, 0xb9fd, -v85
	v_add_f16_e32 v29, v65, v12
	v_add_f16_e32 v13, v43, v13
	;; [unrolled: 1-line block ×5, first 2 shown]
	v_mul_lo_u16 v43, v40, 13
	global_wb scope:SCOPE_SE
	s_wait_kmcnt 0x0
	s_barrier_signal -1
	s_barrier_wait -1
	global_inv scope:SCOPE_SE
	s_and_saveexec_b32 s0, vcc_lo
	s_cbranch_execz .LBB0_7
; %bb.6:
	v_mul_f16_e32 v86, 0xb94e, v16
	v_mul_f16_e32 v87, 0xb94e, v70
	;; [unrolled: 1-line block ×5, first 2 shown]
	v_fmamk_f16 v91, v33, 0xb9fd, v86
	v_fma_f16 v94, v18, 0xb9fd, -v87
	v_fmamk_f16 v95, v34, 0x2fb7, v88
	v_mul_f16_e32 v93, 0x33a8, v23
	v_fma_f16 v97, v19, 0x2fb7, -v89
	v_add_f16_e32 v91, v91, v24
	v_fmamk_f16 v98, v35, 0x388b, v90
	v_add_f16_e32 v94, v94, v4
	v_fmamk_f16 v100, v37, 0xbbc4, v93
	v_mul_f16_e32 v92, 0xba95, v73
	v_add_f16_e32 v91, v95, v91
	v_mul_f16_e32 v95, 0xbb7b, v16
	v_add_f16_e32 v94, v97, v94
	v_mul_f16_e32 v97, 0x3770, v26
	v_mul_f16_e32 v103, 0x3770, v21
	v_add_f16_e32 v91, v98, v91
	v_mul_f16_e32 v98, 0x394e, v17
	v_fmamk_f16 v101, v33, 0xb5ac, v95
	v_mul_f16_e32 v96, 0x33a8, v78
	v_fma_f16 v99, v22, 0x388b, -v92
	v_add_f16_e32 v91, v100, v91
	v_fmamk_f16 v100, v38, 0x3b15, v97
	v_add_f16_e32 v101, v101, v24
	v_fmamk_f16 v102, v34, 0xb9fd, v98
	v_add_f16_e32 v94, v99, v94
	v_fma_f16 v99, v25, 0xbbc4, -v96
	v_add_f16_e32 v91, v100, v91
	v_mul_f16_e32 v107, 0x33a8, v26
	v_add_f16_e32 v100, v102, v101
	v_fmamk_f16 v101, v35, 0x3b15, v103
	v_mul_f16_e32 v102, 0xbbf1, v23
	v_add_f16_e32 v94, v99, v94
	v_mul_f16_e32 v99, 0x3770, v77
	v_mul_f16_e32 v105, 0xbb7b, v32
	v_add_f16_e32 v100, v101, v100
	v_fmamk_f16 v101, v37, 0x2fb7, v102
	v_mul_f16_e32 v106, 0xbb7b, v79
	v_fma_f16 v104, v31, 0x3b15, -v99
	v_fmamk_f16 v108, v50, 0xb5ac, v105
	v_mul_f16_e32 v70, 0xbb7b, v70
	v_add_f16_e32 v100, v101, v100
	v_fmamk_f16 v101, v38, 0xbbc4, v107
	v_add_f16_e32 v94, v104, v94
	v_fma_f16 v104, v36, 0xb5ac, -v106
	v_add_f16_e32 v91, v108, v91
	v_fma_f16 v108, v18, 0xb5ac, -v70
	v_add_f16_e32 v100, v101, v100
	v_mul_f16_e32 v101, 0x2fb7, v33
	v_mul_f16_e32 v72, 0x394e, v72
	;; [unrolled: 1-line block ×3, first 2 shown]
	v_add_f16_e32 v94, v104, v94
	v_mul_f16_e32 v104, 0x3a95, v32
	v_add_f16_e32 v68, v68, v101
	v_add_f16_e32 v101, v108, v4
	v_fma_f16 v108, v19, 0xb9fd, -v72
	v_mul_f16_e32 v73, 0x3770, v73
	v_add_f16_e32 v74, v74, v110
	v_add_f16_e32 v68, v68, v24
	v_mul_f16_e32 v110, 0xb5ac, v35
	v_fmamk_f16 v109, v50, 0x388b, v104
	v_add_f16_e32 v101, v108, v101
	v_fma_f16 v108, v22, 0x3b15, -v73
	v_add_f16_e32 v68, v74, v68
	v_add_f16_e32 v74, v80, v110
	v_mul_f16_e32 v80, 0x2fb7, v18
	v_add_f16_e32 v100, v109, v100
	v_add_f16_e32 v101, v108, v101
	v_mul_f16_e32 v108, 0x3b15, v37
	v_mul_f16_e32 v109, 0xbbc4, v19
	v_sub_f16_e32 v61, v80, v61
	v_mul_f16_e32 v78, 0xbbf1, v78
	v_add_f16_e32 v68, v74, v68
	v_add_f16_e32 v80, v82, v108
	v_sub_f16_e32 v67, v109, v67
	v_add_f16_e32 v61, v61, v4
	v_mul_f16_e32 v82, 0xb5ac, v22
	v_fma_f16 v74, v25, 0x2fb7, -v78
	v_add_f16_e32 v68, v80, v68
	v_mul_f16_e32 v80, 0x388b, v38
	v_add_f16_e32 v61, v67, v61
	v_sub_f16_e32 v67, v82, v71
	v_mul_f16_e32 v71, 0x388b, v33
	v_mul_f16_e32 v77, 0x33a8, v77
	v_add_f16_e32 v74, v74, v101
	v_add_f16_e32 v80, v84, v80
	v_mul_f16_e32 v82, 0x3b15, v25
	v_mul_f16_e32 v84, 0xb5ac, v34
	v_add_f16_e32 v54, v54, v71
	v_fma_f16 v71, v31, 0xbbc4, -v77
	v_add_f16_e32 v61, v67, v61
	v_sub_f16_e32 v67, v82, v75
	v_add_f16_e32 v58, v58, v84
	v_add_f16_e32 v54, v54, v24
	;; [unrolled: 1-line block ×3, first 2 shown]
	v_mul_f16_e32 v74, 0xbbc4, v35
	v_add_f16_e32 v61, v67, v61
	v_mul_f16_e32 v67, 0xb9fd, v37
	v_add_f16_e32 v54, v58, v54
	v_bfi_b32 v45, 0xffff, v46, v45
	v_add_f16_e32 v63, v63, v74
	v_mul_f16_e32 v46, 0x2fb7, v22
	v_add_f16_e32 v64, v64, v67
	v_mul_f16_e32 v67, 0x2fb7, v38
	v_bfi_b32 v48, 0xffff, v49, v48
	v_add_f16_e32 v54, v63, v54
	v_fma_f16 v49, v33, 0xb9fd, -v86
	v_fma_f16 v33, v33, 0xb5ac, -v95
	v_mul_f16_e32 v75, 0x388b, v31
	v_sub_f16_e32 v46, v46, v47
	v_add_f16_e32 v54, v64, v54
	v_add_f16_e32 v64, v69, v67
	v_mul_f16_e32 v67, 0x3b15, v50
	v_add_f16_e32 v47, v49, v24
	v_sub_f16_e32 v74, v75, v76
	v_mul_f16_e32 v58, 0xb9fd, v50
	v_add_f16_e32 v54, v64, v54
	v_add_f16_e32 v64, v81, v67
	v_mul_f16_e32 v67, 0x388b, v19
	v_add_f16_e32 v61, v74, v61
	v_mul_f16_e32 v74, 0xb9fd, v36
	v_add_f16_e32 v68, v80, v68
	v_add_f16_e32 v54, v64, v54
	v_alignbit_b32 v64, v4, v4, 16
	v_sub_f16_e32 v44, v67, v44
	v_sub_f16_e32 v69, v74, v83
	v_mul_f16_e32 v74, 0x3b15, v18
	v_add_f16_e32 v58, v85, v58
	v_pk_add_f16 v5, v5, v64 op_sel:[0,1] op_sel_hi:[1,0]
	v_mul_f16_e32 v67, 0xb5ac, v25
	v_fma_f16 v49, v34, 0x2fb7, -v88
	v_sub_f16_e32 v42, v74, v42
	v_add_f16_e32 v58, v58, v68
	v_pk_add_f16 v5, v10, v5
	v_add_f16_e32 v10, v33, v24
	v_fma_f16 v24, v34, 0xb9fd, -v98
	v_add_f16_e32 v42, v42, v4
	v_mul_f16_e32 v68, 0xb9fd, v31
	v_pk_add_f16 v5, v11, v5
	v_fma_f16 v11, v35, 0x3b15, -v103
	v_add_f16_e32 v10, v24, v10
	v_add_f16_e32 v42, v44, v42
	;; [unrolled: 1-line block ×3, first 2 shown]
	v_pk_add_f16 v5, v8, v5
	v_fma_f16 v49, v35, 0x388b, -v90
	v_add_f16_e32 v10, v11, v10
	v_fma_f16 v11, v37, 0x2fb7, -v102
	v_add_f16_e32 v42, v46, v42
	v_pk_add_f16 v5, v9, v5
	v_sub_f16_e32 v46, v67, v52
	v_fmac_f16_e32 v87, 0xb9fd, v18
	v_add_f16_e32 v9, v11, v10
	v_pk_mul_f16 v10, 0x3b15, v19 op_sel_hi:[0,1]
	v_pk_add_f16 v5, v6, v5
	v_fma_f16 v6, v38, 0xbbc4, -v107
	v_fmac_f16_e32 v70, 0xb5ac, v18
	v_bfi_b32 v51, 0xffff, v53, v51
	v_pk_mul_f16 v11, 0xb9fd, v22 op_sel_hi:[0,1]
	v_pk_add_f16 v5, v7, v5
	v_add_f16_e32 v6, v6, v9
	v_fma_f16 v7, v50, 0x388b, -v104
	v_mul_f16_e32 v44, 0xbbc4, v36
	v_add_f16_e32 v42, v46, v42
	v_pk_add_f16 v2, v2, v5
	v_and_b32_e32 v5, 0xffff, v43
	v_add_f16_e32 v6, v7, v6
	v_pk_mul_f16 v7, 0xbbc4, v18 op_sel_hi:[0,1]
	v_sub_f16_e32 v46, v68, v55
	v_pk_add_f16 v2, v3, v2
	v_add_lshl_u32 v3, v27, v5, 2
	v_pk_add_f16 v5, v45, v64
	v_pk_fma_f16 v9, 0xb3a8, v16, v7 op_sel:[0,0,1] op_sel_hi:[0,1,0] neg_lo:[0,1,0] neg_hi:[0,1,0]
	v_add_f16_e32 v47, v49, v47
	v_pk_add_f16 v0, v0, v2
	v_pk_fma_f16 v2, 0xb3a8, v16, v7 op_sel:[0,0,1] op_sel_hi:[0,1,0]
	v_pk_add_f16 v5, v48, v5
	v_pk_add_f16 v7, v9, v64
	v_pk_fma_f16 v9, 0x3770, v17, v10 op_sel:[0,0,1] op_sel_hi:[0,1,0] neg_lo:[0,1,0] neg_hi:[0,1,0]
	v_pk_fma_f16 v10, 0x3770, v17, v10 op_sel:[0,0,1] op_sel_hi:[0,1,0]
	v_pk_add_f16 v2, v2, v64
	v_fma_f16 v49, v37, 0xbbc4, -v93
	v_add_f16_e32 v55, v87, v4
	v_fmac_f16_e32 v89, 0x2fb7, v19
	v_add_f16_e32 v4, v70, v4
	v_fmac_f16_e32 v72, 0xb9fd, v19
	v_bfi_b32 v53, 0xffff, v57, v56
	v_pk_add_f16 v5, v51, v5
	v_pk_add_f16 v7, v9, v7
	v_pk_fma_f16 v9, 0xb94e, v21, v11 op_sel:[0,0,1] op_sel_hi:[0,1,0] neg_lo:[0,1,0] neg_hi:[0,1,0]
	v_pk_mul_f16 v16, 0x388b, v25 op_sel_hi:[0,1]
	v_pk_add_f16 v2, v10, v2
	v_pk_fma_f16 v10, 0xb94e, v21, v11 op_sel:[0,0,1] op_sel_hi:[0,1,0]
	v_add_f16_e32 v42, v46, v42
	v_sub_f16_e32 v44, v44, v62
	v_add_f16_e32 v46, v49, v47
	v_fma_f16 v47, v38, 0x3b15, -v97
	v_add_f16_e32 v49, v89, v55
	v_fmac_f16_e32 v92, 0x388b, v22
	v_add_f16_e32 v4, v72, v4
	v_fmac_f16_e32 v73, 0x3b15, v22
	v_bfi_b32 v52, 0xffff, v60, v59
	v_pk_add_f16 v5, v53, v5
	v_pk_add_f16 v7, v9, v7
	v_pk_fma_f16 v9, 0x3a95, v23, v16 op_sel:[0,0,1] op_sel_hi:[0,1,0] neg_lo:[0,1,0] neg_hi:[0,1,0]
	v_pk_mul_f16 v11, 0xb5ac, v31 op_sel_hi:[0,1]
	v_pk_add_f16 v2, v10, v2
	v_pk_fma_f16 v10, 0x3a95, v23, v16 op_sel:[0,0,1] op_sel_hi:[0,1,0]
	v_add_f16_e32 v42, v44, v42
	v_add_f16_e32 v44, v47, v46
	v_fma_f16 v46, v50, 0xb5ac, -v105
	v_add_f16_e32 v47, v92, v49
	v_fmac_f16_e32 v96, 0xbbc4, v25
	v_add_f16_e32 v4, v73, v4
	v_fmac_f16_e32 v78, 0x2fb7, v25
	v_mul_f16_e32 v63, 0x3a95, v79
	v_bfi_b32 v55, 0xffff, v66, v65
	v_pk_add_f16 v5, v52, v5
	v_pk_add_f16 v7, v9, v7
	v_pk_fma_f16 v9, 0xbb7b, v26, v11 op_sel:[0,0,1] op_sel_hi:[0,1,0] neg_lo:[0,1,0] neg_hi:[0,1,0]
	v_pk_mul_f16 v16, 0x2fb7, v36 op_sel_hi:[0,1]
	v_pk_add_f16 v2, v10, v2
	v_pk_fma_f16 v10, 0xbb7b, v26, v11 op_sel:[0,0,1] op_sel_hi:[0,1,0]
	v_add_f16_e32 v44, v46, v44
	v_add_f16_e32 v46, v96, v47
	v_fmac_f16_e32 v99, 0x3b15, v31
	v_add_f16_e32 v4, v78, v4
	v_fmac_f16_e32 v77, 0xbbc4, v31
	v_fma_f16 v75, v36, 0x388b, -v63
	v_pk_add_f16 v0, v1, v0
	v_pk_add_f16 v1, v55, v5
	;; [unrolled: 1-line block ×3, first 2 shown]
	v_pk_fma_f16 v7, 0x3bf1, v32, v16 op_sel:[0,0,1] op_sel_hi:[0,1,0] neg_lo:[0,1,0] neg_hi:[0,1,0]
	v_pk_add_f16 v2, v10, v2
	v_pk_fma_f16 v9, 0x3bf1, v32, v16 op_sel:[0,0,1] op_sel_hi:[0,1,0]
	v_add_f16_e32 v8, v99, v46
	v_fmac_f16_e32 v106, 0xb5ac, v36
	v_add_f16_e32 v4, v77, v4
	v_fmac_f16_e32 v63, 0x388b, v36
	v_add_f16_e32 v71, v75, v71
	v_add_f16_e32 v61, v69, v61
	v_pk_add_f16 v0, v15, v0
	v_pack_b32_f16 v11, v94, v91
	v_pk_add_f16 v5, v7, v5
	v_pk_add_f16 v2, v9, v2
	v_add_f16_e32 v8, v106, v8
	v_add_f16_e32 v4, v63, v4
	v_alignbit_b32 v10, v54, v1, 16
	v_pack_b32_f16 v1, v42, v1
	v_pack_b32_f16 v7, v61, v58
	;; [unrolled: 1-line block ×3, first 2 shown]
	ds_store_2addr_b32 v3, v0, v11 offset1:5
	v_alignbit_b32 v0, v5, v2, 16
	v_alignbit_b32 v2, v2, v5, 16
	v_pack_b32_f16 v4, v4, v6
	v_pack_b32_f16 v5, v8, v44
	v_perm_b32 v6, v30, v13, 0x5040100
	v_perm_b32 v8, v28, v12, 0x5040100
	;; [unrolled: 1-line block ×3, first 2 shown]
	ds_store_2addr_b32 v3, v1, v10 offset0:1 offset1:2
	ds_store_2addr_b32 v3, v7, v9 offset0:3 offset1:4
	;; [unrolled: 1-line block ×5, first 2 shown]
	ds_store_b32 v3, v11 offset:48
.LBB0_7:
	s_wait_alu 0xfffe
	s_or_b32 exec_lo, exec_lo, s0
	v_add_lshl_u32 v42, v27, v40, 2
	global_wb scope:SCOPE_SE
	s_wait_dscnt 0x0
	s_barrier_signal -1
	s_barrier_wait -1
	global_inv scope:SCOPE_SE
	v_add_nc_u32_e32 v0, 0x400, v42
	v_add_nc_u32_e32 v1, 0x800, v42
	v_cmp_gt_u16_e64 s0, 13, v40
	ds_load_2addr_b32 v[16:17], v42 offset1:65
	ds_load_2addr_b32 v[25:26], v42 offset0:143 offset1:208
	ds_load_2addr_b32 v[23:24], v0 offset0:30 offset1:95
	;; [unrolled: 1-line block ×4, first 2 shown]
                                        ; implicit-def: $vgpr32
                                        ; implicit-def: $vgpr31
                                        ; implicit-def: $vgpr33
	s_and_saveexec_b32 s1, s0
	s_cbranch_execz .LBB0_9
; %bb.8:
	v_add_nc_u32_e32 v0, 0x200, v42
	v_add_nc_u32_e32 v1, 0x600, v42
	ds_load_2addr_b32 v[12:13], v0 offset0:2 offset1:145
	ds_load_2addr_b32 v[14:15], v1 offset0:32 offset1:175
	ds_load_b32 v31, v42 offset:2808
	s_wait_dscnt 0x2
	v_lshrrev_b32_e32 v28, 16, v12
	v_lshrrev_b32_e32 v30, 16, v13
	s_wait_dscnt 0x1
	v_lshrrev_b32_e32 v29, 16, v14
	v_lshrrev_b32_e32 v32, 16, v15
	s_wait_dscnt 0x0
	v_lshrrev_b32_e32 v33, 16, v31
.LBB0_9:
	s_wait_alu 0xfffe
	s_or_b32 exec_lo, exec_lo, s1
	v_and_b32_e32 v0, 0xff, v40
	v_add_nc_u16 v1, v40, 0x41
	v_add_nc_u16 v3, v40, 0x82
	s_wait_dscnt 0x3
	v_lshrrev_b32_e32 v48, 16, v25
	s_wait_dscnt 0x2
	v_lshrrev_b32_e32 v49, 16, v23
	v_mul_lo_u16 v0, 0x4f, v0
	s_wait_dscnt 0x1
	v_lshrrev_b32_e32 v50, 16, v21
	s_wait_dscnt 0x0
	v_lshrrev_b32_e32 v51, 16, v18
	v_lshrrev_b32_e32 v52, 16, v26
	;; [unrolled: 1-line block ×3, first 2 shown]
	v_lshrrev_b16 v34, 10, v0
	v_and_b32_e32 v0, 0xff, v1
	v_lshrrev_b32_e32 v44, 16, v16
	v_lshrrev_b32_e32 v62, 16, v17
	s_load_b128 s[4:7], s[4:5], 0x0
	v_mul_lo_u16 v2, v34, 13
	v_mul_lo_u16 v0, 0x4f, v0
	v_and_b32_e32 v34, 0xffff, v34
	s_delay_alu instid0(VALU_DEP_3) | instskip(NEXT) | instid1(VALU_DEP_3)
	v_sub_nc_u16 v2, v40, v2
	v_lshrrev_b16 v35, 10, v0
	v_and_b32_e32 v0, 0xff, v3
	s_delay_alu instid0(VALU_DEP_4) | instskip(NEXT) | instid1(VALU_DEP_4)
	v_mul_u32_u24_e32 v34, 0x41, v34
	v_and_b32_e32 v36, 0xff, v2
	s_delay_alu instid0(VALU_DEP_4) | instskip(NEXT) | instid1(VALU_DEP_4)
	v_mul_lo_u16 v2, v35, 13
	v_mul_lo_u16 v0, 0x4f, v0
	v_and_b32_e32 v35, 0xffff, v35
	s_delay_alu instid0(VALU_DEP_4) | instskip(NEXT) | instid1(VALU_DEP_4)
	v_lshlrev_b32_e32 v4, 4, v36
	v_sub_nc_u16 v1, v1, v2
	s_delay_alu instid0(VALU_DEP_4) | instskip(NEXT) | instid1(VALU_DEP_4)
	v_lshrrev_b16 v0, 10, v0
	v_mul_u32_u24_e32 v35, 0x41, v35
	v_add_nc_u32_e32 v34, v34, v36
	global_load_b128 v[8:11], v4, s[2:3]
	v_and_b32_e32 v37, 0xff, v1
	v_mul_lo_u16 v0, v0, 13
	v_lshrrev_b32_e32 v36, 16, v22
	v_add_lshl_u32 v47, v27, v34, 2
	s_delay_alu instid0(VALU_DEP_4) | instskip(NEXT) | instid1(VALU_DEP_4)
	v_lshlrev_b32_e32 v1, 4, v37
	v_sub_nc_u16 v38, v3, v0
	v_add_nc_u32_e32 v35, v35, v37
	v_lshrrev_b32_e32 v37, 16, v19
	global_load_b128 v[4:7], v1, s[2:3]
	v_lshlrev_b16 v0, 2, v38
	v_and_b32_e32 v45, 0xff, v38
	v_add_lshl_u32 v46, v27, v35, 2
	s_delay_alu instid0(VALU_DEP_3) | instskip(NEXT) | instid1(VALU_DEP_1)
	v_and_b32_e32 v0, 0xfc, v0
	v_lshlrev_b32_e32 v0, 2, v0
	global_load_b128 v[0:3], v0, s[2:3]
	global_wb scope:SCOPE_SE
	s_wait_loadcnt 0x0
	s_wait_kmcnt 0x0
	s_barrier_signal -1
	s_barrier_wait -1
	global_inv scope:SCOPE_SE
	v_lshrrev_b32_e32 v61, 16, v8
	v_lshrrev_b32_e32 v60, 16, v9
	;; [unrolled: 1-line block ×4, first 2 shown]
	s_delay_alu instid0(VALU_DEP_4)
	v_mul_f16_e32 v34, v48, v61
	v_mul_f16_e32 v35, v25, v61
	;; [unrolled: 1-line block ×8, first 2 shown]
	v_lshrrev_b32_e32 v58, 16, v4
	v_lshrrev_b32_e32 v57, 16, v5
	;; [unrolled: 1-line block ×4, first 2 shown]
	v_fma_f16 v25, v25, v8, -v34
	v_fmac_f16_e32 v35, v48, v8
	v_fma_f16 v23, v23, v9, -v38
	v_fmac_f16_e32 v63, v49, v9
	;; [unrolled: 2-line block ×4, first 2 shown]
	v_mul_f16_e32 v18, v52, v58
	v_mul_f16_e32 v66, v26, v58
	;; [unrolled: 1-line block ×8, first 2 shown]
	v_lshrrev_b32_e32 v48, 16, v0
	v_lshrrev_b32_e32 v51, 16, v1
	;; [unrolled: 1-line block ×4, first 2 shown]
	v_fma_f16 v26, v26, v4, -v18
	v_fmac_f16_e32 v66, v52, v4
	v_fma_f16 v24, v24, v5, -v21
	v_fmac_f16_e32 v68, v53, v5
	;; [unrolled: 2-line block ×4, first 2 shown]
	v_mul_f16_e32 v34, v30, v48
	v_mul_f16_e32 v22, v13, v48
	;; [unrolled: 1-line block ×8, first 2 shown]
	v_add_f16_e32 v72, v16, v25
	v_add_f16_e32 v73, v23, v38
	v_sub_f16_e32 v76, v25, v23
	v_sub_f16_e32 v77, v64, v38
	v_add_f16_e32 v78, v25, v64
	v_sub_f16_e32 v79, v23, v25
	v_sub_f16_e32 v80, v38, v64
	v_add_f16_e32 v81, v44, v35
	v_add_f16_e32 v82, v63, v65
	v_sub_f16_e32 v84, v35, v63
	v_sub_f16_e32 v85, v67, v65
	v_add_f16_e32 v86, v35, v67
	v_sub_f16_e32 v74, v35, v67
	v_sub_f16_e32 v75, v63, v65
	;; [unrolled: 1-line block ×5, first 2 shown]
	v_fma_f16 v34, v13, v0, -v34
	v_fmac_f16_e32 v22, v30, v0
	v_fma_f16 v14, v14, v1, -v37
	v_fmac_f16_e32 v19, v29, v1
	;; [unrolled: 2-line block ×4, first 2 shown]
	v_add_f16_e32 v23, v72, v23
	v_fma_f16 v29, -0.5, v73, v16
	v_add_f16_e32 v30, v76, v77
	v_fma_f16 v16, -0.5, v78, v16
	v_add_f16_e32 v31, v79, v80
	v_add_f16_e32 v32, v81, v63
	v_fma_f16 v33, -0.5, v82, v44
	v_add_f16_e32 v37, v84, v85
	v_fmac_f16_e32 v44, -0.5, v86
	v_add_f16_e32 v53, v17, v26
	v_add_f16_e32 v63, v24, v52
	v_sub_f16_e32 v73, v26, v24
	v_sub_f16_e32 v76, v36, v52
	v_add_f16_e32 v77, v26, v36
	v_sub_f16_e32 v78, v24, v26
	v_sub_f16_e32 v79, v52, v36
	v_add_f16_e32 v80, v62, v66
	v_add_f16_e32 v81, v68, v69
	v_sub_f16_e32 v84, v66, v68
	v_sub_f16_e32 v85, v71, v69
	v_add_f16_e32 v86, v66, v71
	v_sub_f16_e32 v87, v65, v67
	v_sub_f16_e32 v70, v66, v71
	;; [unrolled: 1-line block ×5, first 2 shown]
	v_add_f16_e32 v23, v23, v38
	v_fmamk_f16 v38, v74, 0x3b9c, v29
	v_fmac_f16_e32 v29, 0xbb9c, v74
	v_add_f16_e32 v32, v32, v65
	v_fmamk_f16 v65, v25, 0xbb9c, v33
	v_fmac_f16_e32 v33, 0x3b9c, v25
	v_fmamk_f16 v89, v83, 0x3b9c, v44
	v_fmac_f16_e32 v44, 0xbb9c, v83
	v_add_f16_e32 v24, v53, v24
	v_fma_f16 v63, -0.5, v63, v17
	v_add_f16_e32 v76, v73, v76
	v_fmac_f16_e32 v17, -0.5, v77
	v_add_f16_e32 v77, v78, v79
	v_add_f16_e32 v53, v80, v68
	v_fma_f16 v68, -0.5, v81, v62
	v_add_f16_e32 v78, v84, v85
	v_fmac_f16_e32 v62, -0.5, v86
	v_add_f16_e32 v73, v14, v15
	v_add_f16_e32 v85, v34, v13
	;; [unrolled: 1-line block ×4, first 2 shown]
	v_sub_f16_e32 v26, v26, v36
	v_fmamk_f16 v88, v75, 0xbb9c, v16
	v_fmac_f16_e32 v16, 0x3b9c, v75
	v_add_f16_e32 v35, v35, v87
	v_sub_f16_e32 v87, v69, v71
	v_sub_f16_e32 v79, v22, v18
	;; [unrolled: 1-line block ×5, first 2 shown]
	v_add_f16_e32 v64, v23, v64
	v_fmac_f16_e32 v38, 0x38b4, v75
	v_fmac_f16_e32 v29, 0xb8b4, v75
	v_add_f16_e32 v32, v32, v67
	v_fmac_f16_e32 v65, 0xb8b4, v83
	v_fmac_f16_e32 v33, 0x38b4, v83
	;; [unrolled: 1-line block ×4, first 2 shown]
	v_add_f16_e32 v25, v24, v52
	v_fmamk_f16 v67, v70, 0x3b9c, v63
	v_fmac_f16_e32 v63, 0xbb9c, v70
	v_add_f16_e32 v69, v53, v69
	v_fmamk_f16 v83, v82, 0x3b9c, v62
	v_fmac_f16_e32 v62, 0xbb9c, v82
	v_fma_f16 v24, -0.5, v73, v12
	v_fma_f16 v23, -0.5, v85, v12
	;; [unrolled: 1-line block ×4, first 2 shown]
	v_fmamk_f16 v75, v26, 0xbb9c, v68
	v_fmac_f16_e32 v88, 0x38b4, v74
	v_fmac_f16_e32 v16, 0xb8b4, v74
	v_fmamk_f16 v74, v72, 0xbb9c, v17
	v_fmac_f16_e32 v17, 0x3b9c, v72
	v_fmac_f16_e32 v68, 0x3b9c, v26
	v_add_f16_e32 v66, v66, v87
	v_sub_f16_e32 v81, v34, v14
	v_sub_f16_e32 v84, v13, v15
	;; [unrolled: 1-line block ×8, first 2 shown]
	v_fmac_f16_e32 v38, 0x34f2, v30
	v_fmac_f16_e32 v29, 0x34f2, v30
	v_add_f16_e32 v30, v25, v36
	v_fmac_f16_e32 v67, 0x38b4, v72
	v_fmac_f16_e32 v63, 0xb8b4, v72
	;; [unrolled: 1-line block ×4, first 2 shown]
	v_fmamk_f16 v25, v79, 0x3b9c, v24
	v_fmac_f16_e32 v24, 0xbb9c, v79
	v_fmamk_f16 v26, v80, 0xbb9c, v23
	v_fmac_f16_e32 v23, 0x3b9c, v80
	;; [unrolled: 2-line block ×4, first 2 shown]
	v_fmac_f16_e32 v75, 0xb8b4, v82
	v_fmac_f16_e32 v65, 0x34f2, v37
	;; [unrolled: 1-line block ×5, first 2 shown]
	v_add_f16_e32 v81, v81, v84
	v_add_f16_e32 v84, v86, v87
	;; [unrolled: 1-line block ×4, first 2 shown]
	v_fmac_f16_e32 v88, 0x34f2, v31
	v_fmac_f16_e32 v16, 0x34f2, v31
	;; [unrolled: 1-line block ×13, first 2 shown]
	v_add_f16_e32 v31, v69, v71
	v_fmac_f16_e32 v67, 0x34f2, v76
	v_fmac_f16_e32 v75, 0x34f2, v78
	v_pack_b32_f16 v32, v64, v32
	v_fmac_f16_e32 v74, 0x34f2, v77
	v_fmac_f16_e32 v17, 0x34f2, v77
	;; [unrolled: 1-line block ×4, first 2 shown]
	v_pack_b32_f16 v35, v38, v65
	v_fmac_f16_e32 v63, 0x34f2, v76
	v_fmac_f16_e32 v68, 0x34f2, v78
	v_pack_b32_f16 v36, v88, v89
	v_pack_b32_f16 v16, v16, v44
	v_fmac_f16_e32 v25, 0x34f2, v81
	v_fmac_f16_e32 v24, 0x34f2, v81
	;; [unrolled: 1-line block ×8, first 2 shown]
	v_pack_b32_f16 v29, v29, v33
	v_pack_b32_f16 v30, v30, v31
	;; [unrolled: 1-line block ×3, first 2 shown]
	ds_store_2addr_b32 v47, v32, v35 offset1:13
	v_pack_b32_f16 v32, v74, v83
	v_pack_b32_f16 v17, v17, v62
	v_pack_b32_f16 v33, v63, v68
	ds_store_2addr_b32 v47, v36, v16 offset0:26 offset1:39
	ds_store_b32 v47, v29 offset:208
	ds_store_2addr_b32 v46, v30, v31 offset1:13
	ds_store_2addr_b32 v46, v32, v17 offset0:26 offset1:39
	ds_store_b32 v46, v33 offset:208
	s_and_saveexec_b32 s1, s0
	s_cbranch_execz .LBB0_11
; %bb.10:
	v_add_f16_e32 v16, v28, v22
	v_add_f16_e32 v12, v12, v34
	v_perm_b32 v17, v52, v23, 0x5040100
	s_delay_alu instid0(VALU_DEP_3) | instskip(NEXT) | instid1(VALU_DEP_3)
	v_add_f16_e32 v16, v16, v19
	v_add_f16_e32 v12, v12, v14
	s_delay_alu instid0(VALU_DEP_2) | instskip(NEXT) | instid1(VALU_DEP_2)
	v_add_f16_e32 v14, v16, v21
	v_add_f16_e32 v12, v12, v15
	v_add_lshl_u32 v15, v27, v45, 2
	v_perm_b32 v16, v72, v26, 0x5040100
	s_delay_alu instid0(VALU_DEP_4) | instskip(NEXT) | instid1(VALU_DEP_4)
	v_add_f16_e32 v14, v14, v18
	v_add_f16_e32 v12, v12, v13
	s_delay_alu instid0(VALU_DEP_4) | instskip(SKIP_1) | instid1(VALU_DEP_3)
	v_add_nc_u32_e32 v18, 0x800, v15
	v_perm_b32 v13, v73, v25, 0x5040100
	v_pack_b32_f16 v12, v12, v14
	v_perm_b32 v14, v53, v24, 0x5040100
	ds_store_2addr_b32 v18, v16, v17 offset0:164 offset1:177
	ds_store_2addr_b32 v18, v12, v13 offset0:138 offset1:151
	ds_store_b32 v15, v14 offset:2808
.LBB0_11:
	s_wait_alu 0xfffe
	s_or_b32 exec_lo, exec_lo, s1
	v_mad_co_u64_u32 v[21:22], null, v40, 40, s[2:3]
	global_wb scope:SCOPE_SE
	s_wait_dscnt 0x0
	s_barrier_signal -1
	s_barrier_wait -1
	global_inv scope:SCOPE_SE
	v_add_nc_u32_e32 v29, 0x400, v42
	v_add_nc_u32_e32 v30, 0x800, v42
	s_clause 0x2
	global_load_b128 v[16:19], v[21:22], off offset:208
	global_load_b128 v[12:15], v[21:22], off offset:224
	global_load_b64 v[21:22], v[21:22], off offset:240
	ds_load_2addr_b32 v[27:28], v42 offset1:65
	ds_load_2addr_b32 v[35:36], v42 offset0:130 offset1:195
	ds_load_b32 v37, v42 offset:2600
	ds_load_2addr_b32 v[33:34], v29 offset0:4 offset1:69
	ds_load_2addr_b32 v[31:32], v29 offset0:134 offset1:199
	;; [unrolled: 1-line block ×3, first 2 shown]
	v_lshl_add_u32 v44, v40, 2, v41
	s_delay_alu instid0(VALU_DEP_1)
	v_add_nc_u32_e32 v75, 0x400, v44
	v_add_nc_u32_e32 v77, 0x600, v44
	;; [unrolled: 1-line block ×4, first 2 shown]
	s_wait_dscnt 0x3
	v_lshrrev_b32_e32 v80, 16, v37
	v_lshrrev_b32_e32 v74, 16, v28
	;; [unrolled: 1-line block ×3, first 2 shown]
	s_wait_dscnt 0x0
	v_lshrrev_b32_e32 v87, 16, v30
	v_lshrrev_b32_e32 v38, 16, v27
	;; [unrolled: 1-line block ×8, first 2 shown]
	s_wait_loadcnt 0x2
	v_lshrrev_b32_e32 v70, 16, v16
	v_lshrrev_b32_e32 v71, 16, v17
	s_wait_loadcnt 0x0
	v_lshrrev_b32_e32 v62, 16, v21
	v_lshrrev_b32_e32 v63, 16, v22
	;; [unrolled: 1-line block ×3, first 2 shown]
	v_mul_f16_e32 v88, v74, v70
	v_mul_f16_e32 v89, v28, v70
	v_lshrrev_b32_e32 v68, 16, v19
	v_lshrrev_b32_e32 v67, 16, v12
	v_lshrrev_b32_e32 v66, 16, v13
	v_lshrrev_b32_e32 v65, 16, v14
	v_lshrrev_b32_e32 v64, 16, v15
	v_mul_f16_e32 v90, v76, v71
	v_mul_f16_e32 v91, v35, v71
	;; [unrolled: 1-line block ×5, first 2 shown]
	v_fma_f16 v28, v28, v16, -v88
	v_fmac_f16_e32 v89, v74, v16
	v_mul_f16_e32 v92, v78, v69
	v_mul_f16_e32 v93, v36, v69
	;; [unrolled: 1-line block ×13, first 2 shown]
	v_fma_f16 v35, v35, v17, -v90
	v_fmac_f16_e32 v91, v76, v17
	v_fma_f16 v74, v30, v21, -v104
	v_fma_f16 v76, v37, v22, -v106
	v_fmac_f16_e32 v107, v80, v22
	v_add_f16_e32 v30, v27, v28
	v_add_f16_e32 v37, v38, v89
	v_fma_f16 v36, v36, v18, -v92
	v_fmac_f16_e32 v93, v78, v18
	v_fma_f16 v33, v33, v19, -v94
	v_fmac_f16_e32 v95, v82, v19
	;; [unrolled: 2-line block ×6, first 2 shown]
	v_fmac_f16_e32 v105, v87, v21
	v_add_f16_e32 v78, v28, v76
	v_sub_f16_e32 v28, v28, v76
	v_sub_f16_e32 v82, v89, v107
	v_add_f16_e32 v83, v35, v74
	v_sub_f16_e32 v85, v35, v74
	v_add_f16_e32 v30, v30, v35
	v_add_f16_e32 v35, v37, v91
	v_add_f16_e32 v80, v89, v107
	v_add_f16_e32 v84, v91, v105
	v_sub_f16_e32 v86, v91, v105
	v_sub_f16_e32 v89, v36, v29
	v_sub_f16_e32 v90, v93, v103
	v_sub_f16_e32 v96, v33, v32
	v_sub_f16_e32 v98, v95, v101
	v_sub_f16_e32 v100, v97, v99
	v_sub_f16_e32 v104, v34, v31
	v_mul_f16_e32 v37, 0xb853, v82
	v_mul_f16_e32 v91, 0xb853, v28
	;; [unrolled: 1-line block ×10, first 2 shown]
	v_add_f16_e32 v30, v30, v36
	v_add_f16_e32 v35, v35, v93
	;; [unrolled: 1-line block ×8, first 2 shown]
	v_mul_f16_e32 v114, 0xbb47, v86
	v_mul_f16_e32 v115, 0xbb47, v85
	;; [unrolled: 1-line block ×16, first 2 shown]
	v_mul_f16_e64 v128, 0xb853, v90
	v_mul_f16_e64 v129, 0xb853, v89
	v_mul_f16_e32 v90, 0xba0c, v90
	v_mul_f16_e32 v89, 0xba0c, v89
	v_mul_f16_e64 v130, 0xba0c, v98
	v_mul_f16_e64 v131, 0xba0c, v96
	;; [unrolled: 1-line block ×7, first 2 shown]
	v_mul_f16_e32 v98, 0x3b47, v98
	v_mul_f16_e64 v137, 0xb482, v96
	v_mul_f16_e32 v96, 0x3b47, v96
	v_mul_f16_e64 v138, 0xb482, v100
	v_mul_f16_e64 v139, 0x3853, v100
	;; [unrolled: 1-line block ×4, first 2 shown]
	v_mul_f16_e32 v100, 0xbbeb, v100
	v_mul_f16_e64 v142, 0xb482, v104
	v_mul_f16_e64 v143, 0x3853, v104
	;; [unrolled: 1-line block ×4, first 2 shown]
	v_mul_f16_e32 v104, 0xbbeb, v104
	v_fma_f16 v36, v78, 0x3abb, -v37
	v_fmamk_f16 v93, v80, 0x3abb, v91
	v_fmac_f16_e32 v37, 0x3abb, v78
	v_fma_f16 v91, v80, 0x3abb, -v91
	v_fma_f16 v146, v78, 0x36a6, -v108
	v_fma_f16 v147, 0x36a6, v80, v109
	v_fmac_f16_e32 v108, 0x36a6, v78
	v_fma_f16 v109, v80, 0x36a6, -v109
	v_fma_f16 v148, v78, 0xb08e, -v110
	v_fma_f16 v149, 0xb08e, v80, v111
	;; [unrolled: 4-line block ×3, first 2 shown]
	v_fmac_f16_e32 v112, 0xb93d, v78
	v_fma_f16 v152, v78, 0xbbad, -v82
	v_fma_f16 v153, 0xbbad, v80, v28
	v_fmac_f16_e32 v82, 0xbbad, v78
	v_fma_f16 v28, v80, 0xbbad, -v28
	v_add_f16_e32 v30, v30, v33
	v_add_f16_e32 v33, v35, v95
	v_fma_f16 v113, v80, 0xb93d, -v113
	v_fma_f16 v78, v83, 0x36a6, -v114
	v_fmamk_f16 v80, v84, 0x36a6, v115
	v_fmac_f16_e32 v114, 0x36a6, v83
	v_fma_f16 v115, v84, 0x36a6, -v115
	v_fma_f16 v154, v83, 0xb93d, -v116
	v_fma_f16 v155, 0xb93d, v84, v117
	v_fmac_f16_e32 v116, 0xb93d, v83
	v_fma_f16 v117, v84, 0xb93d, -v117
	v_fma_f16 v156, v83, 0xbbad, -v118
	v_fma_f16 v157, 0xbbad, v84, v119
	;; [unrolled: 4-line block ×4, first 2 shown]
	v_fmac_f16_e32 v86, 0x3abb, v83
	v_fma_f16 v83, v84, 0x3abb, -v85
	v_fma_f16 v84, v87, 0xb08e, -v122
	v_fmamk_f16 v85, v88, 0xb08e, v123
	v_fmac_f16_e32 v122, 0xb08e, v87
	v_fma_f16 v123, v88, 0xb08e, -v123
	v_fma_f16 v162, v87, 0xbbad, -v124
	v_fma_f16 v163, 0xbbad, v88, v125
	v_fmac_f16_e32 v124, 0xbbad, v87
	v_fma_f16 v125, v88, 0xbbad, -v125
	v_fma_f16 v164, v87, 0x36a6, -v126
	v_fma_f16 v165, 0x36a6, v88, v127
	;; [unrolled: 4-line block ×3, first 2 shown]
	v_fmac_f16_e64 v128, 0x3abb, v87
	v_fma_f16 v129, v88, 0x3abb, -v129
	v_fma_f16 v168, v87, 0xb93d, -v90
	v_fma_f16 v169, 0xb93d, v88, v89
	v_fmac_f16_e32 v90, 0xb93d, v87
	v_fma_f16 v87, v88, 0xb93d, -v89
	v_fma_f16 v88, v92, 0xb93d, -v130
	v_fmac_f16_e64 v130, 0xb93d, v92
	v_fma_f16 v89, v92, 0xb08e, -v132
	v_fmac_f16_e64 v132, 0xb08e, v92
	;; [unrolled: 2-line block ×4, first 2 shown]
	v_fma_f16 v172, v92, 0x36a6, -v98
	v_fmac_f16_e32 v98, 0x36a6, v92
	v_fma_f16 v92, 0xb93d, v94, v131
	v_fma_f16 v131, v94, 0xb93d, -v131
	v_fma_f16 v173, 0xb08e, v94, v133
	v_fma_f16 v133, v94, 0xb08e, -v133
	;; [unrolled: 2-line block ×5, first 2 shown]
	v_fma_f16 v96, v102, 0xbbad, -v138
	v_fmac_f16_e64 v138, 0xbbad, v102
	v_fma_f16 v177, v102, 0x3abb, -v139
	v_fmac_f16_e64 v139, 0x3abb, v102
	;; [unrolled: 2-line block ×4, first 2 shown]
	v_fma_f16 v180, v102, 0xb08e, -v100
	v_fmac_f16_e32 v100, 0xb08e, v102
	v_fma_f16 v102, 0xbbad, v106, v142
	v_fma_f16 v142, v106, 0xbbad, -v142
	v_fma_f16 v181, 0x3abb, v106, v143
	v_fma_f16 v143, v106, 0x3abb, -v143
	;; [unrolled: 2-line block ×5, first 2 shown]
	v_add_f16_e32 v36, v27, v36
	v_add_f16_e32 v37, v27, v37
	v_add_f16_e64 v106, v27, v146
	v_add_f16_e32 v108, v27, v108
	v_add_f16_e64 v146, v27, v148
	;; [unrolled: 2-line block ×4, first 2 shown]
	v_add_f16_e32 v27, v27, v82
	v_add_f16_e32 v35, v38, v93
	;; [unrolled: 1-line block ×3, first 2 shown]
	v_add_f16_e64 v91, v38, v147
	v_add_f16_e32 v93, v38, v109
	v_add_f16_e64 v95, v38, v149
	v_add_f16_e32 v109, v38, v111
	;; [unrolled: 2-line block ×3, first 2 shown]
	v_add_f16_e32 v30, v30, v34
	v_add_f16_e32 v33, v33, v97
	;; [unrolled: 1-line block ×3, first 2 shown]
	v_add_f16_e64 v147, v38, v153
	v_add_f16_e32 v34, v78, v36
	v_add_f16_e32 v35, v80, v35
	;; [unrolled: 1-line block ×4, first 2 shown]
	v_add_f16_e64 v38, v154, v106
	v_add_f16_e64 v78, v155, v91
	v_add_f16_e32 v80, v116, v108
	v_add_f16_e32 v82, v117, v93
	v_add_f16_e64 v91, v156, v146
	v_add_f16_e64 v93, v157, v95
	v_add_f16_e32 v97, v119, v109
	v_add_f16_e64 v106, v158, v148
	v_add_f16_e64 v108, v159, v111
	v_add_f16_e32 v109, v120, v112
	v_add_f16_e64 v111, v160, v150
	v_add_f16_e32 v27, v86, v27
	v_add_f16_e32 v28, v83, v28
	;; [unrolled: 1-line block ×8, first 2 shown]
	v_add_f16_e64 v37, v162, v38
	v_add_f16_e64 v38, v163, v78
	v_add_f16_e32 v78, v124, v80
	v_add_f16_e32 v80, v125, v82
	v_add_f16_e64 v82, v164, v91
	v_add_f16_e64 v83, v165, v93
	v_add_f16_e32 v85, v127, v97
	v_add_f16_e64 v86, v166, v106
	v_add_f16_e64 v91, v167, v108
	;; [unrolled: 1-line block ×4, first 2 shown]
	v_add_f16_e32 v27, v90, v27
	v_add_f16_e32 v28, v87, v28
	;; [unrolled: 1-line block ×6, first 2 shown]
	v_add_f16_e64 v112, v161, v147
	v_add_f16_e32 v32, v88, v33
	v_add_f16_e64 v38, v173, v38
	v_add_f16_e64 v86, v171, v86
	;; [unrolled: 1-line block ×5, first 2 shown]
	v_add_f16_e32 v27, v98, v27
	v_add_f16_e32 v28, v94, v28
	;; [unrolled: 1-line block ×5, first 2 shown]
	v_add_f16_e64 v95, v129, v110
	v_add_f16_e64 v99, v169, v112
	v_add_f16_e32 v33, v92, v34
	v_add_f16_e64 v34, v130, v35
	v_add_f16_e32 v35, v96, v32
	v_add_f16_e64 v88, v181, v38
	v_add_f16_e64 v32, v179, v86
	;; [unrolled: 1-line block ×3, first 2 shown]
	v_add_f16_e32 v38, v100, v27
	v_add_f16_e32 v27, v94, v74
	;; [unrolled: 1-line block ×3, first 2 shown]
	v_add_f16_e64 v36, v131, v36
	v_add_f16_e32 v37, v89, v37
	v_add_f16_e64 v87, v132, v78
	v_add_f16_e64 v82, v170, v82
	;; [unrolled: 1-line block ×8, first 2 shown]
	v_add_f16_e32 v74, v27, v76
	v_add_f16_e32 v76, v90, v107
	;; [unrolled: 1-line block ×3, first 2 shown]
	v_add_f16_e64 v78, v142, v36
	v_add_f16_e64 v36, v177, v37
	;; [unrolled: 1-line block ×10, first 2 shown]
	v_add_f16_e32 v84, v104, v28
	v_add_f16_e64 v33, v141, v91
	v_add_f16_e64 v83, v145, v92
	;; [unrolled: 1-line block ×3, first 2 shown]
	v_pack_b32_f16 v94, v74, v76
	v_pack_b32_f16 v28, v35, v89
	;; [unrolled: 1-line block ×11, first 2 shown]
	ds_store_b32 v44, v94
	ds_store_2addr_b32 v44, v28, v91 offset0:65 offset1:130
	ds_store_2addr_b32 v81, v27, v90 offset0:67 offset1:132
	ds_store_2addr_b32 v75, v92, v93 offset0:69 offset1:134
	ds_store_2addr_b32 v77, v95, v96 offset0:71 offset1:136
	ds_store_2addr_b32 v79, v97, v98 offset0:73 offset1:138
	global_wb scope:SCOPE_SE
	s_wait_dscnt 0x0
	s_barrier_signal -1
	s_barrier_wait -1
	global_inv scope:SCOPE_SE
	s_and_saveexec_b32 s1, vcc_lo
	s_cbranch_execz .LBB0_13
; %bb.12:
	global_load_b32 v27, v39, s[20:21] offset:2860
	s_add_nc_u64 s[2:3], s[20:21], 0xb2c
	s_clause 0xb
	global_load_b32 v81, v39, s[2:3] offset:220
	global_load_b32 v100, v39, s[2:3] offset:440
	;; [unrolled: 1-line block ×12, first 2 shown]
	ds_load_b32 v28, v44
	s_wait_dscnt 0x0
	v_lshrrev_b32_e32 v90, 16, v28
	s_wait_loadcnt 0xb
	v_lshrrev_b32_e32 v111, 16, v81
	s_wait_loadcnt 0xa
	;; [unrolled: 2-line block ×8, first 2 shown]
	v_lshrrev_b32_e32 v118, 16, v106
	v_lshrrev_b32_e32 v91, 16, v27
	s_wait_loadcnt 0x3
	v_lshrrev_b32_e32 v119, 16, v107
	s_wait_loadcnt 0x2
	;; [unrolled: 2-line block ×4, first 2 shown]
	v_lshrrev_b32_e32 v122, 16, v110
	v_mul_f16_e32 v92, v90, v91
	v_mul_f16_e32 v91, v28, v91
	s_delay_alu instid0(VALU_DEP_2) | instskip(NEXT) | instid1(VALU_DEP_2)
	v_fma_f16 v28, v28, v27, -v92
	v_fmac_f16_e32 v91, v90, v27
	s_delay_alu instid0(VALU_DEP_1)
	v_pack_b32_f16 v27, v28, v91
	ds_store_b32 v44, v27
	ds_load_2addr_b32 v[27:28], v44 offset0:55 offset1:110
	ds_load_2addr_b32 v[90:91], v44 offset0:165 offset1:220
	ds_load_2addr_b32 v[92:93], v75 offset0:19 offset1:74
	ds_load_2addr_b32 v[94:95], v75 offset0:129 offset1:184
	ds_load_2addr_b32 v[96:97], v77 offset0:111 offset1:166
	ds_load_2addr_b32 v[98:99], v79 offset0:93 offset1:148
	s_wait_dscnt 0x5
	v_lshrrev_b32_e32 v123, 16, v27
	v_lshrrev_b32_e32 v125, 16, v28
	s_wait_dscnt 0x4
	v_lshrrev_b32_e32 v127, 16, v90
	v_lshrrev_b32_e32 v129, 16, v91
	;; [unrolled: 3-line block ×5, first 2 shown]
	v_mul_f16_e32 v124, v27, v111
	v_mul_f16_e32 v126, v28, v112
	s_wait_dscnt 0x0
	v_lshrrev_b32_e32 v143, 16, v98
	v_lshrrev_b32_e32 v145, 16, v99
	v_mul_f16_e32 v111, v123, v111
	v_mul_f16_e32 v112, v125, v112
	v_mul_f16_e64 v128, v90, v113
	v_mul_f16_e64 v130, v91, v114
	v_mul_f16_e32 v113, v127, v113
	v_mul_f16_e64 v114, v129, v114
	v_mul_f16_e64 v132, v92, v115
	v_mul_f16_e64 v134, v93, v116
	v_mul_f16_e64 v115, v131, v115
	v_mul_f16_e64 v116, v133, v116
	v_mul_f16_e64 v136, v94, v117
	v_mul_f16_e64 v138, v95, v118
	v_mul_f16_e64 v117, v135, v117
	v_mul_f16_e64 v118, v137, v118
	v_mul_f16_e64 v140, v96, v119
	v_mul_f16_e64 v142, v97, v120
	v_mul_f16_e64 v119, v139, v119
	v_mul_f16_e64 v120, v141, v120
	v_mul_f16_e64 v144, v98, v121
	v_mul_f16_e64 v146, v99, v122
	v_fmac_f16_e32 v124, v123, v81
	v_fmac_f16_e32 v126, v125, v100
	v_mul_f16_e64 v121, v143, v121
	v_mul_f16_e64 v122, v145, v122
	v_fma_f16 v27, v27, v81, -v111
	v_fma_f16 v28, v28, v100, -v112
	v_fmac_f16_e64 v128, v127, v101
	v_fmac_f16_e64 v130, v129, v102
	v_fma_f16 v81, v90, v101, -v113
	v_fma_f16 v90, v91, v102, -v114
	v_fmac_f16_e64 v132, v131, v103
	v_fmac_f16_e64 v134, v133, v104
	;; [unrolled: 4-line block ×5, first 2 shown]
	v_fma_f16 v97, v98, v109, -v121
	v_fma_f16 v98, v99, v110, -v122
	v_pack_b32_f16 v27, v27, v124
	v_pack_b32_f16 v28, v28, v126
	;; [unrolled: 1-line block ×12, first 2 shown]
	ds_store_2addr_b32 v44, v27, v28 offset0:55 offset1:110
	ds_store_2addr_b32 v44, v81, v90 offset0:165 offset1:220
	;; [unrolled: 1-line block ×6, first 2 shown]
.LBB0_13:
	s_wait_alu 0xfffe
	s_or_b32 exec_lo, exec_lo, s1
	global_wb scope:SCOPE_SE
	s_wait_dscnt 0x0
	s_barrier_signal -1
	s_barrier_wait -1
	global_inv scope:SCOPE_SE
	s_and_saveexec_b32 s1, vcc_lo
	s_cbranch_execz .LBB0_15
; %bb.14:
	v_add_nc_u32_e32 v25, 0x400, v44
	v_add_nc_u32_e32 v26, 0x600, v44
	v_add_nc_u32_e32 v27, 0x800, v44
	ds_load_b32 v74, v44
	ds_load_2addr_b32 v[35:36], v44 offset0:55 offset1:110
	ds_load_2addr_b32 v[31:32], v44 offset0:165 offset1:220
	;; [unrolled: 1-line block ×6, first 2 shown]
	s_wait_dscnt 0x5
	v_lshrrev_b32_e32 v89, 16, v35
	v_lshrrev_b32_e32 v76, 16, v74
	;; [unrolled: 1-line block ×3, first 2 shown]
	s_wait_dscnt 0x4
	v_lshrrev_b32_e32 v87, 16, v31
	v_lshrrev_b32_e32 v86, 16, v32
	s_wait_dscnt 0x3
	v_lshrrev_b32_e32 v85, 16, v37
	v_lshrrev_b32_e32 v84, 16, v38
	;; [unrolled: 3-line block ×5, first 2 shown]
.LBB0_15:
	s_wait_alu 0xfffe
	s_or_b32 exec_lo, exec_lo, s1
	s_delay_alu instid0(VALU_DEP_1)
	v_sub_f16_e32 v123, v89, v72
	v_add_f16_e64 v129, v72, v89
	v_add_f16_e32 v90, v26, v35
	v_sub_f16_e64 v128, v88, v73
	v_sub_f16_e32 v91, v35, v26
	v_mul_f16_e32 v101, 0xb770, v123
	v_mul_f16_e32 v108, 0xba95, v123
	v_mul_f16_e64 v111, 0x388b, v129
	v_add_f16_e64 v136, v73, v88
	v_add_f16_e32 v92, v25, v36
	v_fma_f16 v27, v90, 0x3b15, -v101
	v_mul_f16_e64 v104, 0xba95, v128
	v_mul_f16_e64 v102, 0x3b15, v129
	;; [unrolled: 1-line block ×3, first 2 shown]
	v_fma_f16 v75, v90, 0x388b, -v108
	v_fmamk_f16 v77, v91, 0xba95, v111
	v_add_f16_e32 v27, v74, v27
	v_sub_f16_e32 v93, v36, v25
	v_mul_f16_e64 v112, 0xbb7b, v128
	v_fma_f16 v94, v92, 0x388b, -v104
	v_mul_f16_e64 v114, 0xb5ac, v136
	v_mul_f16_e32 v116, 0xbbf1, v123
	v_fmamk_f16 v28, v91, 0xb770, v102
	v_add_f16_e32 v75, v74, v75
	v_add_f16_e32 v77, v76, v77
	v_fmamk_f16 v81, v91, 0xbbf1, v120
	v_mul_f16_e64 v105, 0x388b, v136
	v_fma_f16 v96, v92, 0xb5ac, -v112
	v_add_f16_e32 v27, v94, v27
	v_fmamk_f16 v94, v93, 0xbb7b, v114
	v_mul_f16_e64 v130, 0xbbc4, v136
	v_sub_f16_e64 v135, v87, v78
	v_add_f16_e32 v28, v76, v28
	v_fma_f16 v79, v90, 0x2fb7, -v116
	v_add_f16_e32 v81, v76, v81
	v_mul_f16_e64 v121, 0xb3a8, v128
	v_fmamk_f16 v95, v93, 0xba95, v105
	v_add_f16_e32 v75, v96, v75
	v_add_f16_e32 v77, v94, v77
	v_add_f16_e64 v140, v78, v87
	v_fma_f16 v96, 0xb3a8, v93, v130
	v_add_f16_e32 v94, v30, v31
	v_mul_f16_e64 v106, 0xbbf1, v135
	v_add_f16_e32 v79, v74, v79
	v_fma_f16 v97, v92, 0xbbc4, -v121
	v_add_f16_e32 v28, v95, v28
	v_sub_f16_e32 v95, v31, v30
	v_mul_f16_e64 v107, 0x2fb7, v140
	v_add_f16_e32 v81, v96, v81
	v_fma_f16 v96, v94, 0x2fb7, -v106
	v_mul_f16_e64 v126, 0x3b7b, v135
	v_add_f16_e32 v79, v97, v79
	v_mul_f16_e64 v117, 0xb3a8, v135
	v_mul_f16_e64 v119, 0xbbc4, v140
	v_fmamk_f16 v97, v95, 0xbbf1, v107
	v_add_f16_e32 v27, v96, v27
	v_fma_f16 v96, v94, 0xb5ac, -v126
	v_sub_f16_e64 v138, v86, v80
	v_add_f16_e64 v144, v80, v86
	v_fma_f16 v98, v94, 0xbbc4, -v117
	v_fmamk_f16 v99, v95, 0xb3a8, v119
	v_add_f16_e32 v28, v97, v28
	v_mul_f16_e64 v137, 0xb5ac, v140
	v_add_f16_e32 v79, v96, v79
	v_add_f16_e32 v96, v29, v32
	v_sub_f16_e32 v97, v32, v29
	v_mul_f16_e64 v109, 0xbb7b, v138
	v_mul_f16_e64 v110, 0xb5ac, v144
	;; [unrolled: 1-line block ×3, first 2 shown]
	v_add_f16_e32 v75, v98, v75
	v_add_f16_e32 v77, v99, v77
	v_mul_f16_e64 v125, 0x394e, v138
	v_fma_f16 v98, 0x3b7b, v95, v137
	v_fma_f16 v99, v96, 0xb5ac, -v109
	v_fmamk_f16 v100, v97, 0xbb7b, v110
	v_fmamk_f16 v113, v97, 0x394e, v127
	v_mul_f16_e64 v131, 0x3770, v138
	v_sub_f16_e64 v143, v85, v82
	v_add_f16_e64 v147, v82, v85
	v_fma_f16 v103, v96, 0xb9fd, -v125
	v_add_f16_e32 v81, v98, v81
	v_add_f16_e32 v27, v99, v27
	;; [unrolled: 1-line block ×4, first 2 shown]
	v_mul_f16_e64 v142, 0x3b15, v144
	v_add_f16_e32 v98, v34, v37
	v_sub_f16_e32 v99, v37, v34
	v_mul_f16_e64 v113, 0xb94e, v143
	v_mul_f16_e64 v115, 0xb9fd, v147
	v_fma_f16 v100, v96, 0x3b15, -v131
	v_mul_f16_e64 v124, 0x3bf1, v143
	v_add_f16_e32 v75, v103, v75
	v_fma_f16 v103, 0x3770, v97, v142
	v_fma_f16 v118, v98, 0xb9fd, -v113
	v_fmamk_f16 v122, v99, 0xb94e, v115
	v_add_f16_e32 v79, v100, v79
	v_fma_f16 v100, v98, 0x2fb7, -v124
	v_mul_f16_e64 v134, 0x2fb7, v147
	v_sub_f16_e64 v148, v84, v83
	v_mul_f16_e64 v139, 0xba95, v143
	v_mul_f16_e64 v145, 0x388b, v147
	v_add_f16_e32 v81, v103, v81
	v_add_f16_e32 v27, v118, v27
	v_add_f16_e64 v150, v122, v28
	v_add_f16_e32 v75, v100, v75
	v_fma_f16 v28, 0x3bf1, v99, v134
	v_add_f16_e32 v100, v33, v38
	v_mul_f16_e64 v118, 0xb3a8, v148
	v_fma_f16 v103, v98, 0x388b, -v139
	v_fma_f16 v122, 0xba95, v99, v145
	v_add_f16_e64 v149, v83, v84
	v_add_f16_e32 v77, v28, v77
	v_fma_f16 v28, v100, 0xbbc4, -v118
	v_add_f16_e64 v151, v103, v79
	v_add_f16_e64 v152, v122, v81
	v_sub_f16_e32 v103, v38, v33
	v_mul_f16_e64 v122, 0xbbc4, v149
	v_mul_f16_e64 v132, 0x3770, v148
	;; [unrolled: 1-line block ×5, first 2 shown]
	v_add_f16_e32 v28, v28, v27
	v_fmamk_f16 v27, v103, 0xb3a8, v122
	v_fma_f16 v79, v100, 0x3b15, -v132
	v_fma_f16 v153, 0x3770, v103, v133
	v_fma_f16 v154, v100, 0xb9fd, -v141
	v_fma_f16 v155, 0xb94e, v103, v146
	v_add_f16_e64 v81, v27, v150
	v_add_f16_e32 v27, v79, v75
	v_add_f16_e64 v79, v153, v77
	v_add_f16_e64 v75, v154, v151
	;; [unrolled: 1-line block ×3, first 2 shown]
	global_wb scope:SCOPE_SE
	s_barrier_signal -1
	s_barrier_wait -1
	global_inv scope:SCOPE_SE
	s_and_saveexec_b32 s1, vcc_lo
	s_cbranch_execz .LBB0_17
; %bb.16:
	v_add_f16_e32 v35, v35, v74
	v_mul_f16_e64 v176, 0xbbc4, v129
	v_mul_f16_e64 v182, 0x3b15, v136
	;; [unrolled: 1-line block ×4, first 2 shown]
	v_add_f16_e32 v35, v36, v35
	v_fma_f16 v181, 0x33a8, v91, v176
	v_fma_f16 v186, 0xb770, v93, v182
	v_mul_f16_e64 v150, 0x3b15, v90
	v_mul_f16_e64 v151, 0xb770, v91
	v_add_f16_e32 v31, v31, v35
	v_add_f16_e32 v35, v89, v76
	v_add_f16_e64 v181, v76, v181
	v_mul_f16_e64 v191, 0x388b, v144
	v_fma_f16 v193, 0xbbc4, v90, v190
	v_add_f16_e32 v31, v32, v31
	v_add_f16_e32 v32, v88, v35
	v_add_f16_e64 v181, v186, v181
	v_fma_f16 v186, 0x394e, v95, v187
	v_mul_f16_e64 v194, 0x3770, v128
	v_mul_f16_e64 v156, 0x388b, v92
	;; [unrolled: 1-line block ×3, first 2 shown]
	v_sub_f16_e64 v89, v102, v151
	v_add_f16_e64 v101, v150, v101
	v_add_f16_e32 v31, v37, v31
	v_add_f16_e32 v32, v87, v32
	v_add_f16_e64 v181, v186, v181
	v_fma_f16 v186, 0xba95, v97, v191
	v_mul_f16_e64 v195, 0xb5ac, v147
	v_add_f16_e64 v193, v74, v193
	v_fma_f16 v196, 0x3b15, v92, v194
	v_mul_f16_e64 v197, 0xb94e, v135
	v_mul_f16_e64 v162, 0x2fb7, v94
	;; [unrolled: 1-line block ×3, first 2 shown]
	v_add_f16_e32 v35, v76, v89
	v_sub_f16_e64 v88, v105, v157
	v_add_f16_e32 v89, v74, v101
	v_add_f16_e64 v37, v156, v104
	v_add_f16_e32 v31, v38, v31
	v_add_f16_e32 v32, v86, v32
	v_add_f16_e64 v181, v186, v181
	v_fma_f16 v186, 0x3b7b, v99, v195
	v_mul_f16_e64 v198, 0x2fb7, v149
	v_add_f16_e64 v193, v196, v193
	v_fma_f16 v196, 0xb9fd, v94, v197
	v_mul_f16_e64 v199, 0x3a95, v138
	v_mul_f16_e64 v168, 0xb5ac, v96
	;; [unrolled: 1-line block ×3, first 2 shown]
	v_add_f16_e32 v35, v88, v35
	v_sub_f16_e64 v87, v107, v163
	v_add_f16_e32 v37, v37, v89
	v_add_f16_e64 v38, v162, v106
	v_add_f16_e32 v31, v33, v31
	v_add_f16_e32 v32, v85, v32
	v_add_f16_e64 v181, v186, v181
	v_fma_f16 v186, 0xbbf1, v103, v198
	v_mul_f16_e64 v200, 0xb9fd, v129
	v_add_f16_e64 v193, v196, v193
	v_fma_f16 v196, 0x388b, v96, v199
	v_mul_f16_e64 v201, 0xbb7b, v143
	v_mul_f16_e64 v174, 0xb9fd, v98
	v_add_f16_e32 v35, v87, v35
	v_sub_f16_e64 v33, v110, v169
	v_add_f16_e32 v37, v38, v37
	v_add_f16_e64 v38, v168, v109
	v_add_f16_e32 v31, v34, v31
	v_add_f16_e32 v32, v84, v32
	v_add_f16_e64 v181, v186, v181
	v_fma_f16 v186, 0x394e, v91, v200
	v_mul_f16_e64 v202, 0x2fb7, v136
	v_add_f16_e64 v193, v196, v193
	v_fma_f16 v196, 0xb5ac, v98, v201
	v_mul_f16_e64 v203, 0x3bf1, v148
	v_mul_f16_e64 v183, 0xbbc4, v100
	v_add_f16_e32 v33, v33, v35
	v_add_f16_e32 v35, v38, v37
	;; [unrolled: 1-line block ×4, first 2 shown]
	v_add_f16_e64 v32, v174, v113
	v_add_f16_e64 v186, v76, v186
	v_fma_f16 v204, 0xbbf1, v93, v202
	v_mul_f16_e64 v205, 0x388b, v140
	v_add_f16_e64 v193, v196, v193
	v_fma_f16 v196, 0x2fb7, v100, v203
	v_mul_f16_e64 v206, 0xb94e, v123
	v_add_f16_e32 v29, v30, v29
	v_add_f16_e32 v30, v82, v31
	;; [unrolled: 1-line block ×3, first 2 shown]
	v_add_f16_e64 v32, v183, v118
	v_add_f16_e64 v186, v204, v186
	v_fma_f16 v204, 0x3a95, v95, v205
	v_mul_f16_e64 v207, 0xbbc4, v144
	v_add_f16_e64 v193, v196, v193
	v_fma_f16 v196, 0xb9fd, v90, v206
	v_mul_f16_e64 v208, 0x3bf1, v128
	v_add_f16_e32 v25, v25, v29
	v_add_f16_e32 v29, v80, v30
	;; [unrolled: 1-line block ×3, first 2 shown]
	v_fma_f16 v31, v90, 0xbbc4, -v190
	v_add_f16_e64 v186, v204, v186
	v_fma_f16 v204, 0xb3a8, v97, v207
	v_mul_f16_e64 v209, 0x3b15, v147
	v_add_f16_e64 v196, v74, v196
	v_fma_f16 v210, 0x2fb7, v92, v208
	v_mul_f16_e64 v211, 0xba95, v135
	v_add_f16_e32 v31, v74, v31
	v_fma_f16 v32, v92, 0x3b15, -v194
	v_add_f16_e64 v186, v204, v186
	v_fma_f16 v204, 0xb770, v99, v209
	v_mul_f16_e64 v212, 0xb5ac, v149
	v_add_f16_e64 v196, v210, v196
	v_fma_f16 v210, 0x388b, v94, v211
	v_mul_f16_e64 v213, 0x33a8, v138
	v_add_f16_e32 v31, v32, v31
	;; [unrolled: 8-line block ×3, first 2 shown]
	v_fma_f16 v32, v96, 0x388b, -v199
	v_add_f16_e64 v186, v204, v186
	v_fma_f16 v204, 0x3b7b, v91, v129
	v_mul_f16_e64 v136, 0xb9fd, v136
	v_add_f16_e64 v196, v210, v196
	v_fma_f16 v210, 0x3b15, v98, v214
	v_mul_f16_e64 v215, 0xbb7b, v148
	v_mul_f16_e64 v175, 0xb94e, v99
	v_add_f16_e32 v31, v32, v31
	v_fma_f16 v32, v98, 0xb5ac, -v201
	v_mul_f16_e64 v152, 0x388b, v90
	v_mul_f16_e64 v153, 0xba95, v91
	;; [unrolled: 1-line block ×4, first 2 shown]
	v_add_f16_e64 v204, v76, v204
	v_fma_f16 v216, 0xb94e, v93, v136
	v_mul_f16_e64 v140, 0x3b15, v140
	v_add_f16_e64 v196, v210, v196
	v_fma_f16 v210, 0xb5ac, v100, v215
	v_mul_f16_e32 v123, 0xbb7b, v123
	v_mul_f16_e64 v184, 0xb3a8, v103
	v_sub_f16_e64 v34, v115, v175
	v_add_f16_e32 v25, v26, v25
	v_add_f16_e32 v26, v78, v29
	;; [unrolled: 1-line block ×3, first 2 shown]
	v_fma_f16 v32, v100, 0x2fb7, -v203
	v_mul_f16_e64 v158, 0xb5ac, v92
	v_mul_f16_e64 v159, 0xbb7b, v93
	;; [unrolled: 1-line block ×4, first 2 shown]
	v_sub_f16_e64 v120, v120, v155
	v_add_f16_e64 v116, v154, v116
	v_sub_f16_e64 v111, v111, v153
	v_add_f16_e64 v108, v152, v108
	v_add_f16_e64 v204, v216, v204
	v_fma_f16 v216, 0xb770, v95, v140
	v_mul_f16_e64 v144, 0x2fb7, v144
	v_add_f16_e64 v196, v210, v196
	v_fma_f16 v210, 0xb5ac, v90, v123
	v_mul_f16_e64 v128, 0x394e, v128
	v_fmac_f16_e64 v176, 0xb3a8, v91
	v_add_f16_e32 v33, v34, v33
	v_sub_f16_e64 v34, v122, v184
	v_add_f16_e32 v26, v73, v26
	v_fmac_f16_e64 v200, 0xb94e, v91
	v_add_f16_e32 v31, v32, v31
	v_fma_f16 v32, v90, 0xb9fd, -v206
	v_fmac_f16_e64 v129, 0xbb7b, v91
	v_fma_f16 v35, v90, 0xb5ac, -v123
	v_mul_f16_e64 v164, 0xbbc4, v94
	v_mul_f16_e64 v165, 0xb3a8, v95
	v_mul_f16_e64 v166, 0xb5ac, v94
	v_mul_f16_e64 v167, 0x3b7b, v95
	v_add_f16_e32 v120, v76, v120
	v_sub_f16_e64 v130, v130, v161
	v_add_f16_e32 v116, v74, v116
	v_add_f16_e64 v121, v160, v121
	v_add_f16_e32 v111, v76, v111
	v_sub_f16_e64 v114, v114, v159
	v_add_f16_e32 v108, v74, v108
	v_add_f16_e64 v112, v158, v112
	v_add_f16_e64 v204, v216, v204
	v_fma_f16 v216, 0x3bf1, v97, v144
	v_mul_f16_e64 v147, 0xbbc4, v147
	v_add_f16_e64 v210, v74, v210
	v_fma_f16 v217, 0xb9fd, v92, v128
	v_mul_f16_e64 v135, 0x3770, v135
	v_add_f16_e64 v29, v76, v176
	v_fmac_f16_e64 v182, 0x3770, v93
	v_add_f16_e32 v33, v34, v33
	v_add_f16_e64 v34, v76, v200
	v_fmac_f16_e64 v202, 0x3bf1, v93
	v_add_f16_e32 v26, v72, v26
	v_add_f16_e32 v32, v74, v32
	v_fma_f16 v37, v92, 0x2fb7, -v208
	v_add_f16_e64 v38, v76, v129
	v_fmac_f16_e64 v136, 0x394e, v93
	v_add_f16_e32 v35, v74, v35
	v_fma_f16 v72, v92, 0xb9fd, -v128
	v_mul_f16_e64 v170, 0xb9fd, v96
	v_mul_f16_e64 v171, 0x394e, v97
	;; [unrolled: 1-line block ×4, first 2 shown]
	v_add_f16_e64 v120, v130, v120
	v_sub_f16_e64 v130, v137, v167
	v_add_f16_e32 v116, v121, v116
	v_add_f16_e64 v121, v166, v126
	v_add_f16_e32 v111, v114, v111
	v_sub_f16_e64 v114, v119, v165
	v_add_f16_e32 v108, v112, v108
	v_add_f16_e64 v112, v164, v117
	v_add_f16_e64 v204, v216, v204
	v_fma_f16 v155, 0xb3a8, v99, v147
	v_add_f16_e64 v210, v217, v210
	v_fma_f16 v216, 0x3b15, v94, v135
	v_mul_f16_e64 v138, 0xbbf1, v138
	v_add_f16_e64 v29, v182, v29
	v_fmac_f16_e64 v187, 0xb94e, v95
	v_add_f16_e64 v34, v202, v34
	v_fmac_f16_e64 v205, 0xba95, v95
	v_add_f16_e32 v32, v37, v32
	v_fma_f16 v37, v94, 0x388b, -v211
	v_add_f16_e64 v38, v136, v38
	v_fmac_f16_e64 v140, 0x3770, v95
	v_add_f16_e32 v35, v72, v35
	v_fma_f16 v72, v94, 0x3b15, -v135
	v_mul_f16_e64 v177, 0x2fb7, v98
	v_mul_f16_e64 v178, 0x3bf1, v99
	;; [unrolled: 1-line block ×4, first 2 shown]
	v_add_f16_e64 v120, v130, v120
	v_sub_f16_e64 v130, v142, v173
	v_add_f16_e32 v116, v121, v116
	v_add_f16_e64 v121, v172, v131
	v_add_f16_e32 v111, v114, v111
	v_sub_f16_e64 v114, v127, v171
	v_add_f16_e32 v108, v112, v108
	v_add_f16_e64 v112, v170, v125
	v_add_f16_e64 v155, v155, v204
	;; [unrolled: 1-line block ×3, first 2 shown]
	v_fma_f16 v204, 0x2fb7, v96, v138
	v_mul_f16_e64 v143, 0x33a8, v143
	v_add_f16_e64 v29, v187, v29
	v_fmac_f16_e64 v191, 0x3a95, v97
	v_add_f16_e64 v34, v205, v34
	v_fmac_f16_e64 v207, 0x33a8, v97
	v_add_f16_e32 v32, v37, v32
	v_fma_f16 v37, v96, 0xbbc4, -v213
	v_add_f16_e64 v38, v140, v38
	v_fmac_f16_e64 v144, 0xbbf1, v97
	v_add_f16_e32 v35, v72, v35
	v_fma_f16 v72, v96, 0x2fb7, -v138
	v_mul_f16_e64 v185, 0x3b15, v100
	v_mul_f16_e64 v188, 0x3770, v103
	v_mul_f16_e64 v189, 0xb9fd, v100
	v_mul_f16_e64 v192, 0xb94e, v103
	v_add_f16_e64 v120, v130, v120
	v_sub_f16_e64 v130, v145, v180
	v_add_f16_e32 v116, v121, v116
	v_add_f16_e64 v119, v179, v139
	v_add_f16_e32 v111, v114, v111
	v_sub_f16_e64 v114, v134, v178
	v_add_f16_e32 v108, v112, v108
	v_add_f16_e64 v112, v177, v124
	v_mul_f16_e64 v137, 0x388b, v149
	v_add_f16_e64 v149, v204, v161
	v_fma_f16 v161, 0xbbc4, v98, v143
	v_mul_f16_e64 v148, 0x3a95, v148
	v_add_f16_e64 v29, v191, v29
	v_fmac_f16_e64 v195, 0xbb7b, v99
	v_add_f16_e64 v34, v207, v34
	v_fmac_f16_e64 v209, 0x3770, v99
	v_add_f16_e32 v32, v37, v32
	v_fma_f16 v37, v98, 0x3b15, -v214
	v_add_f16_e64 v38, v144, v38
	v_fmac_f16_e64 v147, 0x33a8, v99
	v_add_f16_e32 v35, v72, v35
	v_fma_f16 v72, v98, 0xbbc4, -v143
	v_add_f16_e64 v120, v130, v120
	v_sub_f16_e64 v126, v146, v192
	v_add_f16_e32 v116, v119, v116
	v_add_f16_e64 v119, v189, v141
	v_add_f16_e32 v111, v114, v111
	v_sub_f16_e64 v114, v133, v188
	v_add_f16_e32 v108, v112, v108
	v_add_f16_e64 v112, v185, v132
	v_fma_f16 v142, 0xba95, v103, v137
	v_add_f16_e64 v149, v161, v149
	v_fma_f16 v154, 0x388b, v100, v148
	v_add_f16_e64 v29, v195, v29
	v_fmac_f16_e64 v198, 0x3bf1, v103
	v_add_f16_e64 v34, v209, v34
	v_fmac_f16_e64 v212, 0xbb7b, v103
	v_add_f16_e32 v32, v37, v32
	v_fma_f16 v37, v100, 0xb5ac, -v215
	v_add_f16_e64 v38, v147, v38
	v_fmac_f16_e64 v137, 0x3a95, v103
	v_add_f16_e32 v35, v72, v35
	v_fma_f16 v72, v100, 0x388b, -v148
	v_and_b32_e32 v43, 0xffff, v43
	v_add_f16_e32 v117, v126, v120
	v_add_f16_e32 v36, v119, v116
	;; [unrolled: 1-line block ×4, first 2 shown]
	v_add_f16_e64 v142, v142, v155
	v_add_f16_e64 v145, v154, v149
	;; [unrolled: 1-line block ×4, first 2 shown]
	v_add_f16_e32 v32, v37, v32
	v_add_f16_e64 v37, v137, v38
	v_add_f16_e32 v35, v72, v35
	v_lshl_add_u32 v38, v43, 2, v41
	v_pack_b32_f16 v30, v30, v33
	v_pack_b32_f16 v25, v25, v26
	;; [unrolled: 1-line block ×10, first 2 shown]
	v_perm_b32 v34, v79, v27, 0x5040100
	v_perm_b32 v37, v77, v75, 0x5040100
	;; [unrolled: 1-line block ×3, first 2 shown]
	ds_store_2addr_b32 v38, v25, v30 offset1:1
	ds_store_2addr_b32 v38, v33, v26 offset0:2 offset1:3
	ds_store_2addr_b32 v38, v43, v36 offset0:4 offset1:5
	;; [unrolled: 1-line block ×5, first 2 shown]
	ds_store_b32 v38, v72 offset:48
.LBB0_17:
	s_wait_alu 0xfffe
	s_or_b32 exec_lo, exec_lo, s1
	v_add_nc_u32_e32 v38, 0x400, v42
	v_add_nc_u32_e32 v37, 0x800, v42
	global_wb scope:SCOPE_SE
	s_wait_dscnt 0x0
	s_barrier_signal -1
	s_barrier_wait -1
	global_inv scope:SCOPE_SE
	ds_load_2addr_b32 v[25:26], v42 offset1:65
	ds_load_2addr_b32 v[35:36], v42 offset0:143 offset1:208
	ds_load_2addr_b32 v[33:34], v38 offset0:30 offset1:95
	;; [unrolled: 1-line block ×4, first 2 shown]
	s_and_saveexec_b32 s1, s0
	s_cbranch_execz .LBB0_19
; %bb.18:
	ds_load_b32 v75, v42 offset:520
	ds_load_2addr_b32 v[27:28], v38 offset0:17 offset1:160
	ds_load_2addr_b32 v[23:24], v37 offset0:47 offset1:190
	s_wait_dscnt 0x2
	v_lshrrev_b32_e32 v77, 16, v75
	s_wait_dscnt 0x1
	v_lshrrev_b32_e32 v79, 16, v27
	v_lshrrev_b32_e32 v81, 16, v28
	s_wait_dscnt 0x0
	v_lshrrev_b32_e32 v52, 16, v23
	v_lshrrev_b32_e32 v53, 16, v24
.LBB0_19:
	s_wait_alu 0xfffe
	s_or_b32 exec_lo, exec_lo, s1
	s_wait_dscnt 0x3
	v_lshrrev_b32_e32 v38, 16, v35
	s_wait_dscnt 0x2
	v_lshrrev_b32_e32 v43, 16, v33
	;; [unrolled: 2-line block ×4, first 2 shown]
	v_lshrrev_b32_e32 v76, 16, v36
	v_mul_f16_e32 v78, v61, v38
	v_mul_f16_e32 v61, v61, v35
	v_lshrrev_b32_e32 v80, 16, v34
	v_lshrrev_b32_e32 v82, 16, v32
	;; [unrolled: 1-line block ×3, first 2 shown]
	v_fmac_f16_e32 v78, v8, v35
	v_fma_f16 v8, v8, v38, -v61
	v_mul_f16_e32 v35, v60, v43
	v_mul_f16_e32 v38, v60, v33
	;; [unrolled: 1-line block ×5, first 2 shown]
	v_fmac_f16_e32 v35, v9, v33
	v_fma_f16 v9, v9, v43, -v38
	v_fmac_f16_e32 v60, v10, v31
	v_mul_f16_e32 v31, v58, v76
	v_mul_f16_e32 v33, v58, v36
	v_mul_f16_e32 v38, v57, v80
	v_mul_f16_e32 v43, v57, v34
	v_fmac_f16_e32 v61, v11, v29
	v_mul_f16_e32 v29, v56, v29
	v_fmac_f16_e32 v31, v4, v36
	v_fma_f16 v4, v4, v76, -v33
	v_fmac_f16_e32 v38, v5, v34
	v_fma_f16 v5, v5, v80, -v43
	v_mul_f16_e32 v33, v55, v82
	v_add_f16_e32 v43, v25, v78
	v_fma_f16 v10, v10, v72, -v59
	v_fma_f16 v11, v11, v73, -v29
	v_add_f16_e32 v29, v35, v60
	v_mul_f16_e32 v34, v55, v32
	v_mul_f16_e32 v36, v54, v83
	v_fmac_f16_e32 v33, v6, v32
	v_add_f16_e32 v32, v43, v35
	v_add_f16_e32 v58, v78, v61
	v_lshrrev_b32_e32 v37, 16, v25
	v_fma_f16 v29, -0.5, v29, v25
	v_sub_f16_e32 v55, v8, v11
	v_fmac_f16_e32 v36, v7, v30
	v_sub_f16_e32 v43, v9, v10
	v_sub_f16_e32 v56, v78, v35
	;; [unrolled: 1-line block ×3, first 2 shown]
	v_mul_f16_e32 v30, v54, v30
	v_add_f16_e32 v32, v32, v60
	v_fma_f16 v25, -0.5, v58, v25
	v_fma_f16 v6, v6, v82, -v34
	v_fmamk_f16 v34, v55, 0xbb9c, v29
	v_add_f16_e32 v54, v56, v57
	v_fma_f16 v7, v7, v83, -v30
	v_add_f16_e32 v30, v32, v61
	v_fmac_f16_e32 v29, 0x3b9c, v55
	v_fmamk_f16 v32, v43, 0x3b9c, v25
	v_sub_f16_e32 v56, v35, v78
	v_sub_f16_e32 v57, v60, v61
	v_add_f16_e32 v58, v37, v8
	v_add_f16_e32 v59, v9, v10
	v_fmac_f16_e32 v25, 0xbb9c, v43
	v_fmac_f16_e32 v34, 0xb8b4, v43
	;; [unrolled: 1-line block ×4, first 2 shown]
	v_add_f16_e32 v56, v56, v57
	v_add_f16_e32 v43, v58, v9
	v_fma_f16 v57, -0.5, v59, v37
	v_sub_f16_e32 v58, v78, v61
	v_fmac_f16_e32 v25, 0x38b4, v55
	v_add_f16_e32 v55, v8, v11
	v_fmac_f16_e32 v34, 0x34f2, v54
	v_fmac_f16_e32 v29, 0x34f2, v54
	v_add_f16_e32 v43, v43, v10
	v_fmamk_f16 v54, v58, 0x3b9c, v57
	v_sub_f16_e32 v35, v35, v60
	v_sub_f16_e32 v59, v8, v9
	;; [unrolled: 1-line block ×3, first 2 shown]
	v_fmac_f16_e32 v37, -0.5, v55
	v_fmac_f16_e32 v57, 0xbb9c, v58
	v_sub_f16_e32 v8, v9, v8
	v_sub_f16_e32 v9, v10, v11
	v_add_f16_e32 v10, v38, v33
	v_fmac_f16_e32 v32, 0x34f2, v56
	v_fmac_f16_e32 v25, 0x34f2, v56
	v_add_f16_e32 v43, v43, v11
	v_fmac_f16_e32 v54, 0x38b4, v35
	v_add_f16_e32 v55, v59, v60
	v_fmamk_f16 v56, v35, 0xbb9c, v37
	v_fmac_f16_e32 v57, 0xb8b4, v35
	v_add_f16_e32 v8, v8, v9
	v_fmac_f16_e32 v37, 0x3b9c, v35
	v_add_f16_e32 v9, v26, v31
	v_fma_f16 v10, -0.5, v10, v26
	v_sub_f16_e32 v11, v4, v7
	v_fmac_f16_e32 v54, 0x34f2, v55
	v_fmac_f16_e32 v56, 0x38b4, v58
	;; [unrolled: 1-line block ×4, first 2 shown]
	v_add_f16_e32 v9, v9, v38
	v_fmamk_f16 v35, v11, 0xbb9c, v10
	v_sub_f16_e32 v55, v5, v6
	v_sub_f16_e32 v58, v31, v38
	v_sub_f16_e32 v59, v36, v33
	v_fmac_f16_e32 v10, 0x3b9c, v11
	v_add_f16_e32 v60, v31, v36
	v_lshrrev_b32_e32 v74, 16, v26
	v_add_f16_e32 v9, v9, v33
	v_fmac_f16_e32 v35, 0xb8b4, v55
	v_add_f16_e32 v58, v58, v59
	v_fmac_f16_e32 v10, 0x38b4, v55
	v_fmac_f16_e32 v26, -0.5, v60
	v_sub_f16_e32 v59, v38, v31
	v_sub_f16_e32 v60, v33, v36
	v_fmac_f16_e32 v56, 0x34f2, v8
	v_fmac_f16_e32 v37, 0x34f2, v8
	v_add_f16_e32 v8, v9, v36
	v_fmac_f16_e32 v35, 0x34f2, v58
	v_fmac_f16_e32 v10, 0x34f2, v58
	v_fmamk_f16 v9, v55, 0x3b9c, v26
	v_add_f16_e32 v58, v5, v6
	v_fmac_f16_e32 v26, 0xbb9c, v55
	v_sub_f16_e32 v31, v31, v36
	v_add_f16_e32 v36, v59, v60
	v_add_f16_e32 v59, v4, v7
	;; [unrolled: 1-line block ×3, first 2 shown]
	v_fma_f16 v58, -0.5, v58, v74
	v_fmac_f16_e32 v9, 0xb8b4, v11
	v_fmac_f16_e32 v26, 0x38b4, v11
	v_sub_f16_e32 v33, v38, v33
	v_fmac_f16_e32 v74, -0.5, v59
	v_add_f16_e32 v11, v55, v5
	v_fmamk_f16 v55, v31, 0x3b9c, v58
	v_fmac_f16_e32 v9, 0x34f2, v36
	v_fmac_f16_e32 v26, 0x34f2, v36
	v_sub_f16_e32 v36, v4, v5
	v_sub_f16_e32 v38, v7, v6
	v_fmac_f16_e32 v58, 0xbb9c, v31
	v_fmamk_f16 v59, v33, 0xbb9c, v74
	v_sub_f16_e32 v4, v5, v4
	v_sub_f16_e32 v5, v6, v7
	v_fmac_f16_e32 v74, 0x3b9c, v33
	v_add_f16_e32 v11, v11, v6
	v_fmac_f16_e32 v55, 0x38b4, v33
	v_add_f16_e32 v6, v36, v38
	v_fmac_f16_e32 v58, 0xb8b4, v33
	v_fmac_f16_e32 v59, 0x38b4, v31
	v_add_f16_e32 v4, v4, v5
	v_fmac_f16_e32 v74, 0xb8b4, v31
	v_fmac_f16_e32 v55, 0x34f2, v6
	;; [unrolled: 1-line block ×3, first 2 shown]
	v_pack_b32_f16 v6, v34, v54
	v_fmac_f16_e32 v59, 0x34f2, v4
	v_fmac_f16_e32 v74, 0x34f2, v4
	v_pack_b32_f16 v4, v30, v43
	v_add_f16_e32 v5, v11, v7
	global_wb scope:SCOPE_SE
	s_barrier_signal -1
	s_barrier_wait -1
	global_inv scope:SCOPE_SE
	ds_store_2addr_b32 v47, v4, v6 offset1:13
	v_pack_b32_f16 v4, v32, v56
	v_pack_b32_f16 v6, v25, v37
	;; [unrolled: 1-line block ×8, first 2 shown]
	ds_store_2addr_b32 v47, v4, v6 offset0:26 offset1:39
	ds_store_b32 v47, v7 offset:208
	ds_store_2addr_b32 v46, v5, v8 offset1:13
	ds_store_2addr_b32 v46, v9, v11 offset0:26 offset1:39
	ds_store_b32 v46, v10 offset:208
	s_and_saveexec_b32 s1, s0
	s_cbranch_execz .LBB0_21
; %bb.20:
	v_mul_f16_e32 v4, v48, v27
	v_mul_f16_e32 v5, v49, v24
	;; [unrolled: 1-line block ×6, first 2 shown]
	v_fma_f16 v4, v0, v79, -v4
	v_fma_f16 v5, v3, v53, -v5
	;; [unrolled: 1-line block ×3, first 2 shown]
	v_fmac_f16_e32 v8, v2, v23
	v_mul_f16_e32 v10, v48, v79
	v_mul_f16_e32 v11, v49, v53
	v_fma_f16 v2, v2, v52, -v9
	v_fmac_f16_e32 v7, v1, v28
	v_add_f16_e32 v1, v4, v5
	v_fmac_f16_e32 v10, v0, v27
	v_fmac_f16_e32 v11, v3, v24
	v_sub_f16_e32 v0, v6, v4
	v_sub_f16_e32 v3, v2, v5
	v_add_f16_e32 v24, v6, v2
	v_sub_f16_e32 v9, v7, v8
	v_fma_f16 v1, -0.5, v1, v77
	v_sub_f16_e32 v25, v10, v11
	v_add_f16_e32 v0, v0, v3
	v_fma_f16 v3, -0.5, v24, v77
	v_sub_f16_e32 v24, v4, v6
	v_fmamk_f16 v23, v9, 0x3b9c, v1
	v_fmac_f16_e32 v1, 0xbb9c, v9
	v_sub_f16_e32 v26, v5, v2
	v_fmamk_f16 v27, v25, 0xbb9c, v3
	v_add_f16_e32 v28, v77, v4
	v_fmac_f16_e32 v3, 0x3b9c, v25
	v_fmac_f16_e32 v23, 0xb8b4, v25
	;; [unrolled: 1-line block ×3, first 2 shown]
	v_add_f16_e32 v24, v24, v26
	v_fmac_f16_e32 v27, 0xb8b4, v9
	v_add_f16_e32 v25, v28, v6
	v_fmac_f16_e32 v3, 0x38b4, v9
	v_fmac_f16_e32 v23, 0x34f2, v0
	;; [unrolled: 1-line block ×4, first 2 shown]
	v_add_f16_e32 v0, v25, v2
	v_fmac_f16_e32 v3, 0x34f2, v24
	v_sub_f16_e32 v24, v7, v10
	v_sub_f16_e32 v25, v8, v11
	v_add_f16_e32 v26, v7, v8
	v_add_f16_e32 v9, v10, v11
	;; [unrolled: 1-line block ×3, first 2 shown]
	v_sub_f16_e32 v2, v6, v2
	v_add_f16_e32 v6, v24, v25
	v_sub_f16_e32 v4, v4, v5
	v_fma_f16 v5, -0.5, v26, v75
	v_add_f16_e32 v24, v75, v10
	v_fma_f16 v9, -0.5, v9, v75
	v_sub_f16_e32 v10, v10, v7
	v_sub_f16_e32 v26, v11, v8
	v_fmamk_f16 v28, v4, 0x3b9c, v5
	v_add_f16_e32 v7, v24, v7
	v_fmac_f16_e32 v5, 0xbb9c, v4
	v_fmamk_f16 v25, v2, 0xbb9c, v9
	v_fmac_f16_e32 v9, 0x3b9c, v2
	v_add_f16_e32 v10, v10, v26
	v_add_f16_e32 v7, v7, v8
	v_fmac_f16_e32 v5, 0xb8b4, v2
	v_fmac_f16_e32 v25, 0x38b4, v4
	;; [unrolled: 1-line block ×4, first 2 shown]
	v_add_f16_e32 v2, v7, v11
	v_fmac_f16_e32 v5, 0x34f2, v10
	v_lshl_add_u32 v4, v45, 2, v41
	v_fmac_f16_e32 v25, 0x34f2, v6
	v_fmac_f16_e32 v9, 0x34f2, v6
	;; [unrolled: 1-line block ×3, first 2 shown]
	v_pack_b32_f16 v0, v2, v0
	v_pack_b32_f16 v2, v5, v3
	v_add_nc_u32_e32 v3, 0x800, v4
	v_pack_b32_f16 v1, v9, v1
	v_pack_b32_f16 v5, v25, v23
	;; [unrolled: 1-line block ×3, first 2 shown]
	ds_store_2addr_b32 v3, v0, v2 offset0:138 offset1:151
	ds_store_2addr_b32 v3, v1, v5 offset0:164 offset1:177
	ds_store_b32 v4, v6 offset:2808
.LBB0_21:
	s_wait_alu 0xfffe
	s_or_b32 exec_lo, exec_lo, s1
	global_wb scope:SCOPE_SE
	s_wait_dscnt 0x0
	s_barrier_signal -1
	s_barrier_wait -1
	global_inv scope:SCOPE_SE
	ds_load_2addr_b32 v[0:1], v42 offset1:65
	ds_load_2addr_b32 v[2:3], v42 offset0:130 offset1:195
	v_add_nc_u32_e32 v6, 0x400, v42
	v_add_nc_u32_e32 v8, 0x800, v42
	ds_load_b32 v10, v42 offset:2600
	ds_load_2addr_b32 v[4:5], v6 offset0:4 offset1:69
	ds_load_2addr_b32 v[6:7], v6 offset0:134 offset1:199
	;; [unrolled: 1-line block ×3, first 2 shown]
	s_wait_dscnt 0x5
	v_lshrrev_b32_e32 v23, 16, v1
	s_wait_dscnt 0x4
	v_lshrrev_b32_e32 v24, 16, v2
	v_lshrrev_b32_e32 v25, 16, v3
	v_mul_f16_e32 v27, v70, v1
	v_mul_f16_e32 v28, v71, v2
	s_wait_dscnt 0x2
	v_lshrrev_b32_e32 v29, 16, v4
	v_mul_f16_e32 v34, v70, v23
	v_mul_f16_e32 v35, v71, v24
	v_lshrrev_b32_e32 v30, 16, v5
	v_fma_f16 v23, v16, v23, -v27
	v_mul_f16_e32 v27, v69, v25
	v_fmac_f16_e32 v34, v16, v1
	v_fmac_f16_e32 v35, v17, v2
	v_mul_f16_e32 v2, v68, v29
	v_fma_f16 v16, v17, v24, -v28
	v_mul_f16_e32 v17, v68, v4
	v_lshrrev_b32_e32 v11, 16, v0
	s_wait_dscnt 0x1
	v_lshrrev_b32_e32 v31, 16, v6
	v_mul_f16_e32 v1, v69, v3
	v_fmac_f16_e32 v27, v18, v3
	v_fmac_f16_e32 v2, v19, v4
	v_mul_f16_e32 v3, v67, v30
	v_fma_f16 v4, v19, v29, -v17
	v_add_f16_e32 v17, v0, v34
	v_fma_f16 v1, v18, v25, -v1
	v_mul_f16_e32 v18, v67, v5
	v_mul_f16_e32 v19, v66, v31
	v_fmac_f16_e32 v3, v12, v5
	v_add_f16_e32 v5, v11, v23
	v_add_f16_e32 v17, v17, v35
	v_lshrrev_b32_e32 v32, 16, v7
	v_fmac_f16_e32 v19, v13, v6
	v_mul_f16_e32 v6, v66, v6
	v_add_f16_e32 v5, v5, v16
	v_add_f16_e32 v17, v17, v27
	s_wait_dscnt 0x0
	v_lshrrev_b32_e32 v33, 16, v8
	v_fma_f16 v12, v12, v30, -v18
	v_mul_f16_e32 v18, v65, v32
	v_mul_f16_e32 v24, v65, v7
	v_fma_f16 v6, v13, v31, -v6
	v_add_f16_e32 v5, v5, v1
	v_add_f16_e32 v13, v17, v2
	v_lshrrev_b32_e32 v36, 16, v9
	v_fmac_f16_e32 v18, v14, v7
	v_fma_f16 v7, v14, v32, -v24
	v_mul_f16_e32 v14, v64, v33
	v_add_f16_e32 v5, v5, v4
	v_add_f16_e32 v13, v13, v3
	v_mul_f16_e32 v17, v64, v8
	v_lshrrev_b32_e32 v26, 16, v10
	v_mul_f16_e32 v24, v62, v36
	v_fmac_f16_e32 v14, v15, v8
	v_add_f16_e32 v5, v5, v12
	v_add_f16_e32 v8, v13, v19
	v_fma_f16 v13, v15, v33, -v17
	v_mul_f16_e32 v15, v63, v10
	v_fmac_f16_e32 v24, v21, v9
	v_add_f16_e32 v5, v5, v6
	v_add_f16_e32 v8, v8, v18
	v_mul_f16_e32 v9, v62, v9
	v_mul_f16_e32 v17, v63, v26
	v_fma_f16 v15, v22, v26, -v15
	v_add_f16_e32 v5, v5, v7
	v_add_f16_e32 v8, v8, v14
	v_fma_f16 v9, v21, v36, -v9
	v_fmac_f16_e32 v17, v22, v10
	v_sub_f16_e32 v10, v23, v15
	v_add_f16_e32 v5, v5, v13
	v_add_f16_e32 v8, v8, v24
	v_add_f16_e32 v21, v23, v15
	v_add_f16_e32 v22, v34, v17
	v_mul_f16_e32 v23, 0xb853, v10
	v_sub_f16_e32 v45, v16, v9
	v_add_f16_e32 v5, v5, v9
	v_sub_f16_e32 v25, v34, v17
	v_mul_f16_e32 v26, 0x3abb, v21
	v_fmamk_f16 v28, v22, 0x3abb, v23
	v_add_f16_e32 v8, v8, v17
	v_mul_f16_e32 v17, 0xbb47, v10
	v_mul_f16_e32 v30, 0x36a6, v21
	;; [unrolled: 1-line block ×8, first 2 shown]
	v_add_f16_e32 v47, v35, v24
	v_mul_f16_e32 v48, 0xbb47, v45
	v_add_f16_e32 v9, v16, v9
	v_add_f16_e32 v5, v5, v15
	v_fmamk_f16 v15, v25, 0x3853, v26
	v_add_f16_e32 v28, v0, v28
	v_fma_f16 v23, v22, 0x3abb, -v23
	v_fmac_f16_e32 v26, 0xb853, v25
	v_fmamk_f16 v29, v22, 0x36a6, v17
	v_fmamk_f16 v32, v25, 0x3b47, v30
	v_fma_f16 v17, v22, 0x36a6, -v17
	v_fmac_f16_e32 v30, 0xbb47, v25
	v_fmamk_f16 v33, v22, 0xb08e, v31
	v_fmamk_f16 v36, v25, 0x3beb, v34
	;; [unrolled: 4-line block ×4, first 2 shown]
	v_fma_f16 v10, v22, 0xbbad, -v10
	v_fmac_f16_e32 v21, 0xb482, v25
	v_sub_f16_e32 v16, v35, v24
	v_fmamk_f16 v22, v47, 0x36a6, v48
	v_mul_f16_e32 v24, 0x36a6, v9
	v_add_f16_e32 v15, v11, v15
	v_add_f16_e32 v23, v0, v23
	;; [unrolled: 1-line block ×20, first 2 shown]
	v_fmamk_f16 v21, v16, 0x3b47, v24
	v_mul_f16_e32 v22, 0xba0c, v45
	v_fma_f16 v28, v47, 0x36a6, -v48
	v_fmac_f16_e32 v24, 0xbb47, v16
	v_mul_f16_e32 v35, 0xb93d, v9
	v_add_f16_e32 v15, v21, v15
	v_fmamk_f16 v21, v47, 0xb93d, v22
	v_add_f16_e32 v23, v28, v23
	v_add_f16_e32 v24, v24, v26
	v_fmamk_f16 v26, v16, 0x3a0c, v35
	v_mul_f16_e32 v28, 0x3482, v45
	v_add_f16_e32 v21, v21, v29
	v_fma_f16 v22, v47, 0xb93d, -v22
	v_fmac_f16_e32 v35, 0xba0c, v16
	v_add_f16_e32 v26, v26, v32
	v_fmamk_f16 v29, v47, 0xbbad, v28
	v_mul_f16_e32 v32, 0xbbad, v9
	v_add_f16_e32 v17, v22, v17
	v_add_f16_e32 v22, v35, v30
	v_mul_f16_e32 v30, 0x3beb, v45
	v_add_f16_e32 v29, v29, v33
	v_fmamk_f16 v33, v16, 0xb482, v32
	v_fma_f16 v28, v47, 0xbbad, -v28
	v_fmac_f16_e32 v32, 0x3482, v16
	v_mul_f16_e32 v46, 0xb08e, v9
	v_fmamk_f16 v35, v47, 0xb08e, v30
	v_mul_f16_e32 v9, 0x3abb, v9
	v_add_f16_e32 v28, v28, v31
	v_add_f16_e32 v31, v32, v34
	v_fmamk_f16 v34, v16, 0xbbeb, v46
	v_fma_f16 v30, v47, 0xb08e, -v30
	v_fmac_f16_e32 v46, 0x3beb, v16
	v_add_f16_e32 v32, v35, v41
	v_mul_f16_e32 v35, 0x3853, v45
	v_fmamk_f16 v41, v16, 0xb853, v9
	v_add_f16_e32 v30, v30, v37
	v_add_f16_e32 v37, v46, v38
	v_sub_f16_e32 v38, v1, v13
	v_add_f16_e32 v1, v1, v13
	v_add_f16_e32 v33, v33, v36
	v_fmamk_f16 v36, v47, 0x3abb, v35
	v_add_f16_e32 v25, v41, v25
	v_add_f16_e32 v41, v27, v14
	v_mul_f16_e32 v13, 0xbbeb, v38
	v_fma_f16 v35, v47, 0x3abb, -v35
	v_fmac_f16_e32 v9, 0x3853, v16
	v_sub_f16_e32 v14, v27, v14
	v_mul_f16_e32 v16, 0xb08e, v1
	v_fmamk_f16 v27, v41, 0xb08e, v13
	v_add_f16_e32 v0, v35, v0
	v_add_f16_e32 v9, v9, v10
	v_mul_f16_e32 v10, 0x3482, v38
	v_fmamk_f16 v35, v14, 0x3beb, v16
	v_add_f16_e32 v11, v27, v11
	v_fma_f16 v13, v41, 0xb08e, -v13
	v_fmac_f16_e32 v16, 0xbbeb, v14
	v_fmamk_f16 v27, v41, 0xbbad, v10
	v_add_f16_e32 v15, v35, v15
	v_mul_f16_e32 v35, 0xbbad, v1
	v_add_f16_e32 v13, v13, v23
	v_add_f16_e32 v16, v16, v24
	;; [unrolled: 1-line block ×3, first 2 shown]
	v_mul_f16_e32 v23, 0x3b47, v38
	v_fmamk_f16 v24, v14, 0xb482, v35
	v_fma_f16 v10, v41, 0xbbad, -v10
	v_fmac_f16_e32 v35, 0x3482, v14
	v_mul_f16_e32 v27, 0x36a6, v1
	v_add_f16_e32 v34, v34, v42
	v_fmamk_f16 v42, v41, 0x36a6, v23
	v_add_f16_e32 v10, v10, v17
	v_add_f16_e32 v17, v35, v22
	v_fmamk_f16 v22, v14, 0xbb47, v27
	v_add_f16_e32 v24, v24, v26
	v_add_f16_e32 v26, v42, v29
	v_mul_f16_e32 v29, 0xb853, v38
	v_fma_f16 v23, v41, 0x36a6, -v23
	v_fmac_f16_e32 v27, 0x3b47, v14
	v_add_f16_e32 v22, v22, v33
	v_mul_f16_e32 v33, 0x3abb, v1
	v_fmamk_f16 v35, v41, 0x3abb, v29
	v_add_f16_e32 v23, v23, v28
	v_add_f16_e32 v27, v27, v31
	v_mul_f16_e32 v28, 0xba0c, v38
	v_fmamk_f16 v31, v14, 0x3853, v33
	v_add_f16_e32 v36, v36, v43
	v_add_f16_e32 v32, v35, v32
	v_fma_f16 v29, v41, 0x3abb, -v29
	v_fmac_f16_e32 v33, 0xb853, v14
	v_fmamk_f16 v35, v41, 0xb93d, v28
	v_add_f16_e32 v31, v31, v34
	v_mul_f16_e32 v1, 0xb93d, v1
	v_sub_f16_e32 v34, v4, v7
	v_add_f16_e32 v4, v4, v7
	v_add_f16_e32 v29, v29, v30
	v_add_f16_e32 v30, v33, v37
	v_add_f16_e32 v33, v35, v36
	v_fmamk_f16 v35, v14, 0x3a0c, v1
	v_fma_f16 v28, v41, 0xb93d, -v28
	v_add_f16_e32 v7, v2, v18
	v_mul_f16_e32 v36, 0xba0c, v34
	v_fmac_f16_e32 v1, 0xba0c, v14
	v_sub_f16_e32 v2, v2, v18
	v_mul_f16_e32 v14, 0xb93d, v4
	v_add_f16_e32 v18, v35, v25
	v_fmamk_f16 v25, v7, 0xb93d, v36
	v_add_f16_e32 v0, v28, v0
	v_add_f16_e32 v1, v1, v9
	v_fmamk_f16 v9, v2, 0x3a0c, v14
	v_mul_f16_e32 v28, 0x3beb, v34
	v_fmac_f16_e32 v14, 0xba0c, v2
	v_add_f16_e32 v11, v25, v11
	v_fma_f16 v25, v7, 0xb93d, -v36
	v_add_f16_e32 v9, v9, v15
	v_fmamk_f16 v15, v7, 0xb08e, v28
	v_mul_f16_e32 v35, 0xb08e, v4
	v_add_f16_e32 v14, v14, v16
	v_mul_f16_e32 v16, 0xb853, v34
	v_add_f16_e32 v13, v25, v13
	v_add_f16_e32 v15, v15, v21
	v_fmamk_f16 v21, v2, 0xbbeb, v35
	v_fma_f16 v25, v7, 0xb08e, -v28
	v_fmamk_f16 v28, v7, 0x3abb, v16
	v_mul_f16_e32 v36, 0x3abb, v4
	v_fma_f16 v16, v7, 0x3abb, -v16
	v_add_f16_e32 v21, v21, v24
	v_add_f16_e32 v10, v25, v10
	;; [unrolled: 1-line block ×3, first 2 shown]
	v_fmamk_f16 v25, v2, 0x3853, v36
	v_mul_f16_e32 v26, 0xb482, v34
	v_mul_f16_e32 v28, 0xbbad, v4
	v_add_f16_e32 v16, v16, v23
	v_mul_f16_e32 v34, 0x3b47, v34
	v_add_f16_e32 v22, v25, v22
	v_fmamk_f16 v25, v7, 0xbbad, v26
	v_fmamk_f16 v23, v2, 0x3482, v28
	v_fma_f16 v26, v7, 0xbbad, -v26
	v_fmac_f16_e32 v28, 0xb482, v2
	v_mul_f16_e32 v4, 0x36a6, v4
	v_add_f16_e32 v25, v25, v32
	v_add_f16_e32 v23, v23, v31
	v_fmamk_f16 v31, v7, 0x36a6, v34
	v_add_f16_e32 v26, v26, v29
	v_sub_f16_e32 v29, v12, v6
	v_add_f16_e32 v28, v28, v30
	v_add_f16_e32 v32, v3, v19
	;; [unrolled: 1-line block ×4, first 2 shown]
	v_mul_f16_e32 v33, 0xb482, v29
	v_fmac_f16_e32 v35, 0x3beb, v2
	v_fmac_f16_e32 v36, 0xb853, v2
	v_fmamk_f16 v31, v2, 0xbb47, v4
	v_fma_f16 v7, v7, 0x36a6, -v34
	v_fmac_f16_e32 v4, 0x3b47, v2
	v_sub_f16_e32 v2, v3, v19
	v_fmamk_f16 v3, v32, 0xbbad, v33
	v_mul_f16_e32 v12, 0xbbad, v6
	v_add_f16_e32 v0, v7, v0
	v_add_f16_e32 v1, v4, v1
	v_mul_f16_e32 v7, 0x3853, v29
	v_add_f16_e32 v3, v3, v11
	v_fmamk_f16 v4, v2, 0x3482, v12
	v_fma_f16 v11, v32, 0xbbad, -v33
	v_fmac_f16_e32 v12, 0xb482, v2
	v_mul_f16_e32 v19, 0x3abb, v6
	v_add_f16_e32 v17, v35, v17
	v_add_f16_e32 v4, v4, v9
	v_fmamk_f16 v9, v32, 0x3abb, v7
	v_add_f16_e32 v11, v11, v13
	v_add_f16_e32 v12, v12, v14
	v_fmamk_f16 v13, v2, 0xb853, v19
	v_mul_f16_e32 v14, 0xba0c, v29
	v_fma_f16 v7, v32, 0x3abb, -v7
	v_fmac_f16_e32 v19, 0x3853, v2
	v_add_f16_e32 v9, v9, v15
	v_add_f16_e32 v13, v13, v21
	v_fmamk_f16 v15, v32, 0xb93d, v14
	v_mul_f16_e32 v21, 0xb93d, v6
	v_add_f16_e32 v7, v7, v10
	v_add_f16_e32 v10, v19, v17
	v_mul_f16_e32 v17, 0x3b47, v29
	v_add_f16_e32 v27, v36, v27
	v_add_f16_e32 v15, v15, v24
	v_fmamk_f16 v19, v2, 0x3a0c, v21
	v_fma_f16 v14, v32, 0xb93d, -v14
	v_fmac_f16_e32 v21, 0xba0c, v2
	v_fmamk_f16 v24, v32, 0x36a6, v17
	v_add_f16_e32 v18, v31, v18
	v_mul_f16_e32 v31, 0x36a6, v6
	v_add_f16_e32 v14, v14, v16
	v_add_f16_e32 v16, v21, v27
	;; [unrolled: 1-line block ×3, first 2 shown]
	v_fma_f16 v17, v32, 0x36a6, -v17
	v_mul_f16_e32 v24, 0xbbeb, v29
	v_mul_f16_e32 v6, 0xb08e, v6
	v_add_f16_e32 v19, v19, v22
	v_fmamk_f16 v22, v2, 0xbb47, v31
	v_add_f16_e32 v17, v17, v26
	v_fmamk_f16 v25, v32, 0xb08e, v24
	v_fmamk_f16 v26, v2, 0x3beb, v6
	v_fma_f16 v24, v32, 0xb08e, -v24
	v_fmac_f16_e32 v6, 0xbbeb, v2
	v_fmac_f16_e32 v31, 0x3b47, v2
	v_pack_b32_f16 v2, v8, v5
	v_add_f16_e32 v22, v22, v23
	v_add_f16_e32 v5, v25, v30
	;; [unrolled: 1-line block ×6, first 2 shown]
	ds_store_b32 v44, v2
	v_pack_b32_f16 v6, v3, v4
	v_pack_b32_f16 v9, v9, v13
	v_add_nc_u32_e32 v4, 0x400, v44
	v_add_nc_u32_e32 v3, 0x600, v44
	;; [unrolled: 1-line block ×3, first 2 shown]
	v_pack_b32_f16 v13, v15, v19
	v_pack_b32_f16 v15, v21, v22
	v_add_nc_u32_e32 v18, 0x200, v44
	v_pack_b32_f16 v5, v5, v8
	v_pack_b32_f16 v0, v0, v1
	;; [unrolled: 1-line block ×6, first 2 shown]
	ds_store_2addr_b32 v44, v6, v9 offset0:65 offset1:130
	ds_store_2addr_b32 v18, v13, v15 offset0:67 offset1:132
	;; [unrolled: 1-line block ×5, first 2 shown]
	global_wb scope:SCOPE_SE
	s_wait_dscnt 0x0
	s_barrier_signal -1
	s_barrier_wait -1
	global_inv scope:SCOPE_SE
	s_and_b32 exec_lo, exec_lo, vcc_lo
	s_cbranch_execz .LBB0_23
; %bb.22:
	s_clause 0x6
	global_load_b32 v0, v39, s[20:21]
	global_load_b32 v1, v39, s[20:21] offset:220
	global_load_b32 v9, v39, s[20:21] offset:440
	;; [unrolled: 1-line block ×6, first 2 shown]
	ds_load_b32 v25, v44
	ds_load_2addr_b32 v[14:15], v44 offset0:55 offset1:110
	ds_load_2addr_b32 v[16:17], v44 offset0:165 offset1:220
	v_mad_co_u64_u32 v[12:13], null, s6, v20, 0
	v_mad_co_u64_u32 v[18:19], null, s4, v40, 0
	ds_load_2addr_b32 v[21:22], v4 offset0:19 offset1:74
	s_mov_b32 s24, 0xd118b474
	s_mov_b32 s25, 0x3f56ea28
	s_mul_u64 s[22:23], s[4:5], 0xdc
	s_clause 0x3
	global_load_b32 v5, v39, s[20:21] offset:1540
	global_load_b32 v6, v39, s[20:21] offset:1760
	;; [unrolled: 1-line block ×4, first 2 shown]
	s_wait_dscnt 0x2
	v_mad_co_u64_u32 v[23:24], null, s7, v20, v[13:14]
	v_mad_co_u64_u32 v[19:20], null, s5, v40, v[19:20]
	v_lshrrev_b32_e32 v20, 16, v25
	v_lshrrev_b32_e32 v26, 16, v14
	;; [unrolled: 1-line block ×3, first 2 shown]
	s_wait_dscnt 0x1
	v_lshrrev_b32_e32 v29, 16, v16
	v_mov_b32_e32 v13, v23
	v_lshrrev_b32_e32 v30, 16, v17
	s_wait_dscnt 0x0
	v_lshrrev_b32_e32 v31, 16, v21
	v_lshlrev_b64_e32 v[18:19], 2, v[18:19]
	v_lshrrev_b32_e32 v40, 16, v22
	v_lshlrev_b64_e32 v[12:13], 2, v[12:13]
	s_wait_loadcnt 0xa
	v_lshrrev_b32_e32 v23, 16, v0
	s_wait_loadcnt 0x9
	v_lshrrev_b32_e32 v24, 16, v1
	;; [unrolled: 2-line block ×5, first 2 shown]
	v_mul_f16_e32 v32, v20, v23
	v_mul_f16_e32 v23, v25, v23
	;; [unrolled: 1-line block ×4, first 2 shown]
	s_wait_loadcnt 0x5
	v_lshrrev_b32_e32 v36, 16, v27
	v_fmac_f16_e32 v32, v25, v0
	v_mul_f16_e32 v25, v26, v24
	v_fma_f16 v0, v0, v20, -v23
	v_mul_f16_e32 v20, v15, v33
	v_fmac_f16_e32 v38, v15, v9
	v_cvt_f32_f16_e32 v24, v32
	v_fmac_f16_e32 v25, v14, v1
	v_cvt_f32_f16_e32 v0, v0
	v_fma_f16 v14, v1, v26, -v37
	v_mul_f16_e32 v32, v29, v34
	v_cvt_f64_f32_e32 v[23:24], v24
	v_cvt_f32_f16_e32 v25, v25
	v_cvt_f64_f32_e32 v[0:1], v0
	v_cvt_f32_f16_e32 v26, v14
	v_mul_f16_e32 v33, v16, v34
	v_fma_f16 v9, v9, v28, -v20
	v_cvt_f64_f32_e32 v[14:15], v25
	v_cvt_f32_f16_e32 v20, v38
	v_cvt_f64_f32_e32 v[25:26], v26
	v_mul_f16_e32 v34, v30, v35
	v_fmac_f16_e32 v32, v16, v10
	v_cvt_f32_f16_e32 v16, v9
	v_fma_f16 v29, v10, v29, -v33
	v_cvt_f64_f32_e32 v[9:10], v20
	v_mul_f16_e32 v35, v17, v35
	v_mul_f16_e32 v37, v31, v36
	v_fmac_f16_e32 v34, v17, v11
	v_cvt_f32_f16_e32 v20, v32
	v_cvt_f64_f32_e32 v[16:17], v16
	v_mul_f16_e32 v28, v21, v36
	v_fmac_f16_e32 v37, v21, v27
	v_cvt_f32_f16_e32 v29, v29
	v_cvt_f64_f32_e32 v[20:21], v20
	v_fma_f16 v11, v11, v30, -v35
	v_fma_f16 v30, v27, v31, -v28
	v_cvt_f32_f16_e32 v31, v34
	v_cvt_f64_f32_e32 v[27:28], v29
	v_cvt_f32_f16_e32 v33, v37
	v_cvt_f32_f16_e32 v11, v11
	;; [unrolled: 1-line block ×3, first 2 shown]
	v_cvt_f64_f32_e32 v[29:30], v31
	v_add_co_u32 v37, vcc_lo, s8, v12
	s_delay_alu instid0(VALU_DEP_4) | instskip(SKIP_1) | instid1(VALU_DEP_3)
	v_cvt_f64_f32_e32 v[31:32], v11
	v_add_co_ci_u32_e32 v13, vcc_lo, s9, v13, vcc_lo
	v_add_co_u32 v18, vcc_lo, v37, v18
	v_mul_f64_e32 v[23:24], s[24:25], v[23:24]
	s_wait_alu 0xfffd
	s_delay_alu instid0(VALU_DEP_3)
	v_add_co_ci_u32_e32 v19, vcc_lo, v13, v19, vcc_lo
	v_mul_f64_e32 v[11:12], s[24:25], v[0:1]
	v_cvt_f64_f32_e32 v[33:34], v33
	s_wait_loadcnt 0x4
	v_lshrrev_b32_e32 v38, 16, v41
	v_mul_f64_e32 v[13:14], s[24:25], v[14:15]
	v_add_co_u32 v37, vcc_lo, v18, s22
	v_mul_f64_e32 v[25:26], s[24:25], v[25:26]
	s_delay_alu instid0(VALU_DEP_4)
	v_mul_f16_e32 v1, v22, v38
	v_mul_f16_e32 v0, v40, v38
	s_wait_alu 0xfffd
	v_add_co_ci_u32_e32 v38, vcc_lo, s23, v19, vcc_lo
	v_mul_f64_e32 v[9:10], s[24:25], v[9:10]
	v_fma_f16 v1, v41, v40, -v1
	v_add_co_u32 v40, vcc_lo, v37, s22
	v_mul_f64_e32 v[15:16], s[24:25], v[16:17]
	v_fmac_f16_e32 v0, v22, v41
	s_wait_alu 0xfffd
	v_add_co_ci_u32_e32 v41, vcc_lo, s23, v38, vcc_lo
	v_mul_f64_e32 v[20:21], s[24:25], v[20:21]
	v_add_co_u32 v42, vcc_lo, v40, s22
	s_wait_alu 0xfffd
	s_delay_alu instid0(VALU_DEP_3)
	v_add_co_ci_u32_e32 v43, vcc_lo, s23, v41, vcc_lo
	v_mul_f64_e32 v[27:28], s[24:25], v[27:28]
	v_cvt_f64_f32_e32 v[35:36], v35
	v_cvt_f32_f16_e32 v0, v0
	v_mul_f64_e32 v[29:30], s[24:25], v[29:30]
	v_cvt_f32_f16_e32 v1, v1
	v_mul_f64_e32 v[31:32], s[24:25], v[31:32]
	s_delay_alu instid0(VALU_DEP_4) | instskip(NEXT) | instid1(VALU_DEP_3)
	v_cvt_f64_f32_e32 v[44:45], v0
	v_cvt_f64_f32_e32 v[46:47], v1
	v_and_or_b32 v17, 0x1ff, v24, v23
	v_lshrrev_b32_e32 v22, 8, v24
	v_bfe_u32 v23, v24, 20, 11
	v_and_or_b32 v11, 0x1ff, v12, v11
	v_mul_f64_e32 v[33:34], s[24:25], v[33:34]
	v_cmp_ne_u32_e32 vcc_lo, 0, v17
	v_and_or_b32 v13, 0x1ff, v14, v13
	v_lshrrev_b32_e32 v48, 8, v14
	v_bfe_u32 v49, v14, 20, 11
	v_and_or_b32 v25, 0x1ff, v26, v25
	s_wait_alu 0xfffd
	v_cndmask_b32_e64 v17, 0, 1, vcc_lo
	v_cmp_ne_u32_e32 vcc_lo, 0, v11
	v_bfe_u32 v51, v26, 20, 11
	v_sub_nc_u32_e32 v66, 0x3f1, v23
	v_and_or_b32 v9, 0x1ff, v10, v9
	v_and_or_b32 v17, 0xffe, v22, v17
	s_wait_alu 0xfffd
	v_cndmask_b32_e64 v11, 0, 1, vcc_lo
	v_cmp_ne_u32_e32 vcc_lo, 0, v13
	v_and_or_b32 v15, 0x1ff, v16, v15
	v_add_nc_u32_e32 v23, 0xfffffc10, v23
	v_lshrrev_b32_e32 v50, 8, v26
	v_bfe_u32 v53, v10, 20, 11
	s_wait_alu 0xfffd
	v_cndmask_b32_e64 v13, 0, 1, vcc_lo
	v_cmp_ne_u32_e32 vcc_lo, 0, v25
	v_and_or_b32 v20, 0x1ff, v21, v20
	v_bfe_u32 v55, v16, 20, 11
	v_sub_nc_u32_e32 v68, 0x3f1, v49
	v_and_or_b32 v27, 0x1ff, v28, v27
	s_wait_alu 0xfffd
	v_cndmask_b32_e64 v25, 0, 1, vcc_lo
	v_cmp_ne_u32_e32 vcc_lo, 0, v9
	v_and_or_b32 v29, 0x1ff, v30, v29
	v_mul_f64_e32 v[0:1], s[24:25], v[35:36]
	v_lshrrev_b32_e32 v35, 8, v12
	v_and_or_b32 v31, 0x1ff, v32, v31
	s_wait_alu 0xfffd
	v_cndmask_b32_e64 v9, 0, 1, vcc_lo
	v_cmp_ne_u32_e32 vcc_lo, 0, v15
	v_bfe_u32 v36, v12, 20, 11
	v_and_or_b32 v11, 0xffe, v35, v11
	v_sub_nc_u32_e32 v69, 0x3f1, v51
	v_med3_i32 v22, v66, 0, 13
	s_wait_alu 0xfffd
	v_cndmask_b32_e64 v15, 0, 1, vcc_lo
	v_cmp_ne_u32_e32 vcc_lo, 0, v20
	v_and_or_b32 v33, 0x1ff, v34, v33
	v_sub_nc_u32_e32 v67, 0x3f1, v36
	v_add_nc_u32_e32 v36, 0xfffffc10, v36
	v_and_or_b32 v13, 0xffe, v48, v13
	s_wait_alu 0xfffd
	v_cndmask_b32_e64 v20, 0, 1, vcc_lo
	v_cmp_ne_u32_e32 vcc_lo, 0, v27
	v_med3_i32 v35, v67, 0, 13
	v_or_b32_e32 v66, 0x1000, v17
	v_lshl_or_b32 v67, v23, 12, v17
	v_lshrrev_b32_e32 v52, 8, v10
	s_wait_alu 0xfffd
	v_cndmask_b32_e64 v27, 0, 1, vcc_lo
	v_cmp_ne_u32_e32 vcc_lo, 0, v29
	v_lshrrev_b32_e32 v54, 8, v16
	v_bfe_u32 v57, v21, 20, 11
	v_bfe_u32 v59, v28, 20, 11
	v_add_nc_u32_e32 v49, 0xfffffc10, v49
	s_wait_alu 0xfffd
	v_cndmask_b32_e64 v29, 0, 1, vcc_lo
	v_cmp_ne_u32_e32 vcc_lo, 0, v31
	v_sub_nc_u32_e32 v70, 0x3f1, v53
	v_sub_nc_u32_e32 v71, 0x3f1, v55
	v_med3_i32 v48, v68, 0, 13
	v_and_or_b32 v25, 0xffe, v50, v25
	s_wait_alu 0xfffd
	v_cndmask_b32_e64 v31, 0, 1, vcc_lo
	v_cmp_ne_u32_e32 vcc_lo, 0, v33
	v_med3_i32 v50, v69, 0, 13
	v_or_b32_e32 v68, 0x1000, v11
	v_lshl_or_b32 v69, v36, 12, v11
	v_lshrrev_b32_e32 v56, 8, v21
	s_wait_alu 0xfffd
	v_cndmask_b32_e64 v33, 0, 1, vcc_lo
	v_cmp_ne_u32_e32 vcc_lo, 0, v17
	v_lshrrev_b32_e32 v58, 8, v28
	v_bfe_u32 v61, v30, 20, 11
	v_bfe_u32 v63, v32, 20, 11
	v_add_nc_u32_e32 v51, 0xfffffc10, v51
	s_wait_alu 0xfffd
	v_cndmask_b32_e64 v17, 0, 1, vcc_lo
	v_cmp_ne_u32_e32 vcc_lo, 0, v11
	v_sub_nc_u32_e32 v72, 0x3f1, v57
	v_sub_nc_u32_e32 v73, 0x3f1, v59
	v_and_or_b32 v9, 0xffe, v52, v9
	v_med3_i32 v52, v70, 0, 13
	s_wait_alu 0xfffd
	v_cndmask_b32_e64 v11, 0, 1, vcc_lo
	v_cmp_ne_u32_e32 vcc_lo, 0, v13
	v_and_or_b32 v15, 0xffe, v54, v15
	v_med3_i32 v54, v71, 0, 13
	v_or_b32_e32 v70, 0x1000, v13
	v_lshl_or_b32 v71, v49, 12, v13
	s_wait_alu 0xfffd
	v_cndmask_b32_e64 v13, 0, 1, vcc_lo
	v_cmp_ne_u32_e32 vcc_lo, 0, v25
	v_lshrrev_b32_e32 v60, 8, v30
	v_lshrrev_b32_e32 v62, 8, v32
	v_bfe_u32 v65, v34, 20, 11
	v_add_nc_u32_e32 v53, 0xfffffc10, v53
	v_sub_nc_u32_e32 v74, 0x3f1, v61
	v_sub_nc_u32_e32 v75, 0x3f1, v63
	v_and_or_b32 v20, 0xffe, v56, v20
	v_med3_i32 v56, v72, 0, 13
	v_and_or_b32 v27, 0xffe, v58, v27
	v_med3_i32 v58, v73, 0, 13
	v_or_b32_e32 v72, 0x1000, v25
	v_lshl_or_b32 v73, v51, 12, v25
	s_wait_alu 0xfffd
	v_cndmask_b32_e64 v25, 0, 1, vcc_lo
	v_cmp_ne_u32_e32 vcc_lo, 0, v9
	v_lshrrev_b32_e32 v64, 8, v34
	v_add_nc_u32_e32 v55, 0xfffffc10, v55
	v_sub_nc_u32_e32 v76, 0x3f1, v65
	v_and_or_b32 v29, 0xffe, v60, v29
	v_med3_i32 v60, v74, 0, 13
	v_and_or_b32 v31, 0xffe, v62, v31
	v_med3_i32 v62, v75, 0, 13
	v_or_b32_e32 v74, 0x1000, v9
	v_lshl_or_b32 v75, v53, 12, v9
	s_wait_alu 0xfffd
	v_cndmask_b32_e64 v9, 0, 1, vcc_lo
	v_cmp_ne_u32_e32 vcc_lo, 0, v15
	v_add_nc_u32_e32 v57, 0xfffffc10, v57
	v_and_or_b32 v33, 0xffe, v64, v33
	v_med3_i32 v64, v76, 0, 13
	v_or_b32_e32 v76, 0x1000, v15
	v_lshl_or_b32 v77, v55, 12, v15
	s_wait_alu 0xfffd
	v_cndmask_b32_e64 v15, 0, 1, vcc_lo
	v_cmp_ne_u32_e32 vcc_lo, 0, v20
	v_add_nc_u32_e32 v59, 0xfffffc10, v59
	v_or_b32_e32 v78, 0x1000, v20
	v_lshl_or_b32 v79, v57, 12, v20
	v_add_nc_u32_e32 v61, 0xfffffc10, v61
	s_wait_alu 0xfffd
	v_cndmask_b32_e64 v20, 0, 1, vcc_lo
	v_cmp_ne_u32_e32 vcc_lo, 0, v27
	v_or_b32_e32 v80, 0x1000, v27
	v_lshl_or_b32 v81, v59, 12, v27
	v_lshrrev_b32_e32 v88, v22, v66
	v_add_nc_u32_e32 v63, 0xfffffc10, v63
	s_wait_alu 0xfffd
	v_cndmask_b32_e64 v27, 0, 1, vcc_lo
	v_cmp_ne_u32_e32 vcc_lo, 0, v29
	v_or_b32_e32 v82, 0x1000, v29
	v_lshl_or_b32 v83, v61, 12, v29
	v_lshrrev_b32_e32 v89, v35, v68
	v_lshlrev_b32_e32 v22, v22, v88
	s_wait_alu 0xfffd
	v_cndmask_b32_e64 v29, 0, 1, vcc_lo
	v_cmp_ne_u32_e32 vcc_lo, 0, v31
	v_or_b32_e32 v84, 0x1000, v31
	v_lshl_or_b32 v85, v63, 12, v31
	v_lshrrev_b32_e32 v90, v48, v70
	v_lshlrev_b32_e32 v35, v35, v89
	s_wait_alu 0xfffd
	v_cndmask_b32_e64 v31, 0, 1, vcc_lo
	v_cmp_ne_u32_e32 vcc_lo, v22, v66
	v_lshrrev_b32_e32 v91, v50, v72
	v_lshlrev_b32_e32 v48, v48, v90
	v_lshl_or_b32 v13, v13, 9, 0x7c00
	v_lshrrev_b32_e32 v92, v52, v74
	s_wait_alu 0xfffd
	v_cndmask_b32_e64 v22, 0, 1, vcc_lo
	v_cmp_ne_u32_e32 vcc_lo, v35, v68
	v_lshlrev_b32_e32 v50, v50, v91
	v_lshl_or_b32 v17, v17, 9, 0x7c00
	v_lshrrev_b32_e32 v93, v54, v76
	v_lshlrev_b32_e32 v52, v52, v92
	s_wait_alu 0xfffd
	v_cndmask_b32_e64 v35, 0, 1, vcc_lo
	v_cmp_ne_u32_e32 vcc_lo, v48, v70
	v_lshl_or_b32 v11, v11, 9, 0x7c00
	v_lshrrev_b32_e32 v94, v56, v78
	v_lshlrev_b32_e32 v54, v54, v93
	v_lshl_or_b32 v15, v15, 9, 0x7c00
	s_wait_alu 0xfffd
	v_cndmask_b32_e64 v48, 0, 1, vcc_lo
	v_cmp_ne_u32_e32 vcc_lo, v50, v72
	v_lshrrev_b32_e32 v95, v58, v80
	v_lshlrev_b32_e32 v56, v56, v94
	v_lshl_or_b32 v9, v9, 9, 0x7c00
	v_lshrrev_b32_e32 v96, v60, v82
	s_wait_alu 0xfffd
	v_cndmask_b32_e64 v50, 0, 1, vcc_lo
	v_cmp_ne_u32_e32 vcc_lo, v52, v74
	v_lshlrev_b32_e32 v58, v58, v95
	v_or_b32_e32 v86, 0x1000, v33
	v_lshl_or_b32 v27, v27, 9, 0x7c00
	v_lshrrev_b32_e32 v97, v62, v84
	s_wait_alu 0xfffd
	v_cndmask_b32_e64 v52, 0, 1, vcc_lo
	v_cmp_ne_u32_e32 vcc_lo, v54, v76
	v_lshlrev_b32_e32 v60, v60, v96
	v_lshrrev_b32_e32 v98, v64, v86
	v_lshlrev_b32_e32 v62, v62, v97
	v_lshl_or_b32 v31, v31, 9, 0x7c00
	s_wait_alu 0xfffd
	v_cndmask_b32_e64 v54, 0, 1, vcc_lo
	v_cmp_ne_u32_e32 vcc_lo, v56, v78
	v_lshlrev_b32_e32 v64, v64, v98
	v_or_b32_e32 v22, v88, v22
	v_or_b32_e32 v35, v89, v35
	;; [unrolled: 1-line block ×3, first 2 shown]
	s_wait_alu 0xfffd
	v_cndmask_b32_e64 v56, 0, 1, vcc_lo
	v_cmp_ne_u32_e32 vcc_lo, v58, v80
	v_or_b32_e32 v50, v91, v50
	v_or_b32_e32 v52, v92, v52
	;; [unrolled: 1-line block ×4, first 2 shown]
	s_wait_alu 0xfffd
	v_cndmask_b32_e64 v58, 0, 1, vcc_lo
	v_cmp_ne_u32_e32 vcc_lo, v60, v82
	v_lshl_or_b32 v29, v29, 9, 0x7c00
	v_lshl_or_b32 v25, v25, 9, 0x7c00
	;; [unrolled: 1-line block ×3, first 2 shown]
	v_or_b32_e32 v58, v95, v58
	s_wait_alu 0xfffd
	v_cndmask_b32_e64 v60, 0, 1, vcc_lo
	v_cmp_ne_u32_e32 vcc_lo, v62, v84
	v_lshrrev_b32_e32 v24, 16, v24
	v_lshrrev_b32_e32 v12, 16, v12
	v_lshrrev_b32_e32 v14, 16, v14
	v_or_b32_e32 v60, v96, v60
	s_wait_alu 0xfffd
	v_cndmask_b32_e64 v62, 0, 1, vcc_lo
	v_cmp_ne_u32_e32 vcc_lo, v64, v86
	v_lshrrev_b32_e32 v10, 16, v10
	v_lshrrev_b32_e32 v21, 16, v21
	v_lshrrev_b32_e32 v16, 16, v16
	v_or_b32_e32 v62, v97, v62
	s_wait_alu 0xfffd
	v_cndmask_b32_e64 v64, 0, 1, vcc_lo
	v_cmp_gt_i32_e32 vcc_lo, 1, v23
	v_lshrrev_b32_e32 v26, 16, v26
	v_lshrrev_b32_e32 v28, 16, v28
	v_and_or_b32 v0, 0x1ff, v1, v0
	v_or_b32_e32 v64, v98, v64
	s_wait_alu 0xfffd
	v_cndmask_b32_e32 v22, v67, v22, vcc_lo
	v_cmp_gt_i32_e32 vcc_lo, 1, v36
	v_lshrrev_b32_e32 v32, 16, v32
	v_lshrrev_b32_e32 v30, 16, v30
	s_wait_alu 0xfffd
	v_dual_cndmask_b32 v35, v69, v35 :: v_dual_and_b32 v66, 7, v22
	v_cmp_gt_i32_e32 vcc_lo, 1, v49
	v_lshrrev_b32_e32 v22, 2, v22
	s_delay_alu instid0(VALU_DEP_3) | instskip(SKIP_4) | instid1(VALU_DEP_3)
	v_cmp_eq_u32_e64 s0, 3, v66
	s_wait_alu 0xfffd
	v_dual_cndmask_b32 v48, v71, v48 :: v_dual_and_b32 v67, 7, v35
	v_cmp_gt_i32_e32 vcc_lo, 1, v51
	v_lshrrev_b32_e32 v35, 2, v35
	v_cmp_lt_i32_e64 s1, 5, v67
	s_delay_alu instid0(VALU_DEP_4)
	v_and_b32_e32 v68, 7, v48
	s_wait_alu 0xfffd
	v_cndmask_b32_e32 v50, v73, v50, vcc_lo
	v_cmp_gt_i32_e32 vcc_lo, 1, v53
	v_cmp_eq_u32_e64 s2, 3, v67
	v_lshrrev_b32_e32 v48, 2, v48
	v_cmp_lt_i32_e64 s3, 5, v68
	s_wait_alu 0xfffd
	v_dual_cndmask_b32 v52, v75, v52 :: v_dual_and_b32 v69, 7, v50
	v_cmp_gt_i32_e32 vcc_lo, 1, v55
	v_cmp_eq_u32_e64 s4, 3, v68
	v_lshrrev_b32_e32 v50, 2, v50
	s_delay_alu instid0(VALU_DEP_4)
	v_cmp_lt_i32_e64 s5, 5, v69
	v_and_b32_e32 v70, 7, v52
	s_wait_alu 0xfffd
	v_cndmask_b32_e32 v54, v77, v54, vcc_lo
	v_cmp_gt_i32_e32 vcc_lo, 1, v57
	v_cmp_eq_u32_e64 s6, 3, v69
	v_lshrrev_b32_e32 v52, 2, v52
	v_cmp_lt_i32_e64 s7, 5, v70
	s_wait_alu 0xfffd
	v_dual_cndmask_b32 v56, v79, v56 :: v_dual_and_b32 v71, 7, v54
	v_cmp_gt_i32_e32 vcc_lo, 1, v59
	v_cmp_eq_u32_e64 s8, 3, v70
	v_lshrrev_b32_e32 v54, 2, v54
	s_delay_alu instid0(VALU_DEP_4)
	v_cmp_lt_i32_e64 s9, 5, v71
	;; [unrolled: 14-line block ×3, first 2 shown]
	v_and_b32_e32 v74, 7, v60
	s_wait_alu 0xfffd
	v_cndmask_b32_e32 v62, v85, v62, vcc_lo
	v_cmp_lt_i32_e32 vcc_lo, 5, v66
	v_cmp_eq_u32_e64 s14, 3, v73
	v_lshrrev_b32_e32 v60, 2, v60
	v_cmp_lt_i32_e64 s15, 5, v74
	v_and_b32_e32 v75, 7, v62
	s_or_b32 vcc_lo, s0, vcc_lo
	v_cmp_eq_u32_e64 s16, 3, v74
	s_wait_alu 0xfffe
	v_add_co_ci_u32_e32 v22, vcc_lo, 0, v22, vcc_lo
	s_or_b32 vcc_lo, s2, s1
	v_cmp_lt_i32_e64 s17, 5, v75
	s_wait_alu 0xfffe
	v_add_co_ci_u32_e32 v35, vcc_lo, 0, v35, vcc_lo
	s_or_b32 vcc_lo, s4, s3
	v_cmp_eq_u32_e64 s18, 3, v75
	s_wait_alu 0xfffe
	v_add_co_ci_u32_e32 v48, vcc_lo, 0, v48, vcc_lo
	s_or_b32 vcc_lo, s6, s5
	v_lshrrev_b32_e32 v62, 2, v62
	s_wait_alu 0xfffe
	v_add_co_ci_u32_e32 v50, vcc_lo, 0, v50, vcc_lo
	s_or_b32 vcc_lo, s8, s7
	s_wait_alu 0xfffe
	v_add_co_ci_u32_e32 v52, vcc_lo, 0, v52, vcc_lo
	s_or_b32 vcc_lo, s10, s9
	;; [unrolled: 3-line block ×6, first 2 shown]
	s_wait_alu 0xfffe
	v_add_co_ci_u32_e32 v62, vcc_lo, 0, v62, vcc_lo
	v_cmp_gt_i32_e32 vcc_lo, 31, v23
	s_wait_alu 0xfffd
	v_cndmask_b32_e32 v22, 0x7c00, v22, vcc_lo
	v_cmp_gt_i32_e32 vcc_lo, 31, v36
	s_wait_alu 0xfffd
	v_cndmask_b32_e32 v35, 0x7c00, v35, vcc_lo
	v_cmp_gt_i32_e32 vcc_lo, 31, v49
	s_wait_alu 0xfffd
	v_cndmask_b32_e32 v48, 0x7c00, v48, vcc_lo
	v_cmp_gt_i32_e32 vcc_lo, 31, v51
	s_wait_alu 0xfffd
	v_cndmask_b32_e32 v50, 0x7c00, v50, vcc_lo
	v_cmp_gt_i32_e32 vcc_lo, 31, v53
	s_wait_alu 0xfffd
	v_cndmask_b32_e32 v52, 0x7c00, v52, vcc_lo
	v_cmp_gt_i32_e32 vcc_lo, 31, v55
	s_wait_alu 0xfffd
	v_cndmask_b32_e32 v54, 0x7c00, v54, vcc_lo
	v_cmp_gt_i32_e32 vcc_lo, 31, v57
	s_wait_alu 0xfffd
	v_cndmask_b32_e32 v56, 0x7c00, v56, vcc_lo
	v_cmp_gt_i32_e32 vcc_lo, 31, v59
	s_wait_alu 0xfffd
	v_cndmask_b32_e32 v58, 0x7c00, v58, vcc_lo
	v_cmp_gt_i32_e32 vcc_lo, 31, v61
	s_wait_alu 0xfffd
	v_cndmask_b32_e32 v60, 0x7c00, v60, vcc_lo
	v_cmp_gt_i32_e32 vcc_lo, 31, v63
	s_wait_alu 0xfffd
	v_cndmask_b32_e32 v62, 0x7c00, v62, vcc_lo
	v_cmp_eq_u32_e32 vcc_lo, 0x40f, v23
	s_wait_alu 0xfffd
	v_cndmask_b32_e32 v17, v22, v17, vcc_lo
	v_cmp_eq_u32_e32 vcc_lo, 0x40f, v36
	s_delay_alu instid0(VALU_DEP_2)
	v_and_or_b32 v17, 0x8000, v24, v17
	s_wait_alu 0xfffd
	v_cndmask_b32_e32 v11, v35, v11, vcc_lo
	v_cmp_eq_u32_e32 vcc_lo, 0x40f, v49
	s_wait_loadcnt 0x3
	v_lshrrev_b32_e32 v24, 16, v5
	s_delay_alu instid0(VALU_DEP_3) | instskip(SKIP_3) | instid1(VALU_DEP_2)
	v_and_or_b32 v11, 0x8000, v12, v11
	s_wait_alu 0xfffd
	v_cndmask_b32_e32 v13, v48, v13, vcc_lo
	v_cmp_eq_u32_e32 vcc_lo, 0x40f, v51
	v_and_or_b32 v12, 0x8000, v14, v13
	s_wait_alu 0xfffd
	v_cndmask_b32_e32 v22, v50, v25, vcc_lo
	v_cmp_eq_u32_e32 vcc_lo, 0x40f, v53
	s_delay_alu instid0(VALU_DEP_3) | instskip(NEXT) | instid1(VALU_DEP_3)
	v_and_b32_e32 v12, 0xffff, v12
	v_and_or_b32 v13, 0x8000, v26, v22
	s_wait_alu 0xfffd
	v_cndmask_b32_e32 v9, v52, v9, vcc_lo
	v_cmp_eq_u32_e32 vcc_lo, 0x40f, v55
	s_delay_alu instid0(VALU_DEP_3) | instskip(NEXT) | instid1(VALU_DEP_3)
	v_lshl_or_b32 v12, v13, 16, v12
	v_and_or_b32 v9, 0x8000, v10, v9
	s_wait_alu 0xfffd
	v_cndmask_b32_e32 v15, v54, v15, vcc_lo
	v_cmp_eq_u32_e32 vcc_lo, 0x40f, v57
	v_add_nc_u32_e32 v65, 0xfffffc10, v65
	v_and_b32_e32 v9, 0xffff, v9
	s_delay_alu instid0(VALU_DEP_4)
	v_and_or_b32 v10, 0x8000, v16, v15
	s_wait_alu 0xfffd
	v_cndmask_b32_e32 v20, v56, v20, vcc_lo
	v_cmp_eq_u32_e32 vcc_lo, 0x40f, v59
	v_and_b32_e32 v16, 0xffff, v17
	v_lshl_or_b32 v87, v65, 12, v33
	v_lshl_or_b32 v9, v10, 16, v9
	v_and_or_b32 v14, 0x8000, v21, v20
	s_wait_alu 0xfffd
	v_cndmask_b32_e32 v23, v58, v27, vcc_lo
	v_cmp_eq_u32_e32 vcc_lo, 0x40f, v61
	v_lshl_or_b32 v11, v11, 16, v16
	v_and_b32_e32 v14, 0xffff, v14
	s_delay_alu instid0(VALU_DEP_4) | instskip(SKIP_3) | instid1(VALU_DEP_3)
	v_and_or_b32 v15, 0x8000, v28, v23
	s_wait_alu 0xfffd
	v_cndmask_b32_e32 v25, v60, v29, vcc_lo
	v_cmp_eq_u32_e32 vcc_lo, 0x40f, v63
	v_lshl_or_b32 v10, v15, 16, v14
	s_clause 0x3
	global_store_b32 v[18:19], v11, off
	global_store_b32 v[37:38], v12, off
	;; [unrolled: 1-line block ×4, first 2 shown]
	s_wait_alu 0xfffd
	v_cndmask_b32_e32 v17, v62, v31, vcc_lo
	v_cmp_gt_i32_e32 vcc_lo, 1, v65
	v_mul_f64_e32 v[9:10], s[24:25], v[44:45]
	v_lshrrev_b32_e32 v11, 8, v1
	v_and_or_b32 v13, 0x8000, v30, v25
	v_and_or_b32 v14, 0x8000, v32, v17
	s_wait_alu 0xfffd
	v_cndmask_b32_e32 v15, v87, v64, vcc_lo
	v_cmp_ne_u32_e32 vcc_lo, 0, v0
	v_bfe_u32 v17, v1, 20, 11
	v_lshrrev_b32_e32 v1, 16, v1
	s_delay_alu instid0(VALU_DEP_4)
	v_and_b32_e32 v16, 7, v15
	s_wait_alu 0xfffd
	v_cndmask_b32_e64 v0, 0, 1, vcc_lo
	v_lshrrev_b32_e32 v20, 2, v15
	v_add_nc_u32_e32 v25, 0xfffffc10, v17
	v_cmp_lt_i32_e32 vcc_lo, 5, v16
	s_delay_alu instid0(VALU_DEP_4)
	v_and_or_b32 v0, 0xffe, v11, v0
	ds_load_2addr_b32 v[11:12], v4 offset0:129 offset1:184
	v_sub_nc_u32_e32 v4, 0x3f1, v17
	v_cmp_eq_u32_e64 s0, 3, v16
	v_mul_f64_e32 v[15:16], s[24:25], v[46:47]
	v_or_b32_e32 v18, 0x1000, v0
	v_lshl_or_b32 v17, v25, 12, v0
	v_med3_i32 v4, v4, 0, 13
	s_or_b32 vcc_lo, s0, vcc_lo
	s_wait_alu 0xfffe
	v_add_co_ci_u32_e32 v20, vcc_lo, 0, v20, vcc_lo
	s_delay_alu instid0(VALU_DEP_2) | instskip(SKIP_1) | instid1(VALU_DEP_2)
	v_lshrrev_b32_e32 v21, v4, v18
	v_cmp_ne_u32_e32 vcc_lo, 0, v33
	v_lshlrev_b32_e32 v4, v4, v21
	s_wait_alu 0xfffd
	v_cndmask_b32_e64 v22, 0, 1, vcc_lo
	v_cmp_gt_i32_e32 vcc_lo, 31, v65
	s_wait_dscnt 0x0
	v_lshrrev_b32_e32 v23, 16, v11
	v_and_or_b32 v9, 0x1ff, v10, v9
	s_wait_alu 0xfffd
	v_cndmask_b32_e32 v20, 0x7c00, v20, vcc_lo
	v_cmp_ne_u32_e32 vcc_lo, v4, v18
	v_mul_f16_e32 v18, v23, v24
	v_lshrrev_b32_e32 v26, 8, v10
	v_bfe_u32 v27, v10, 20, 11
	v_lshl_or_b32 v22, v22, 9, 0x7c00
	s_wait_alu 0xfffd
	v_cndmask_b32_e64 v4, 0, 1, vcc_lo
	v_fmac_f16_e32 v18, v11, v5
	v_cmp_ne_u32_e32 vcc_lo, 0, v9
	v_mul_f16_e32 v11, v11, v24
	v_lshrrev_b32_e32 v10, 16, v10
	v_or_b32_e32 v4, v21, v4
	v_cvt_f32_f16_e32 v18, v18
	s_wait_alu 0xfffd
	v_cndmask_b32_e64 v9, 0, 1, vcc_lo
	v_cmp_gt_i32_e32 vcc_lo, 1, v25
	global_load_b32 v21, v39, s[20:21] offset:2420
	v_fma_f16 v5, v5, v23, -v11
	v_add_nc_u32_e32 v23, 0xfffffc10, v27
	v_and_or_b32 v9, 0xffe, v26, v9
	s_wait_alu 0xfffd
	v_cndmask_b32_e32 v4, v17, v4, vcc_lo
	v_cvt_f64_f32_e32 v[17:18], v18
	v_sub_nc_u32_e32 v26, 0x3f1, v27
	v_cmp_eq_u32_e32 vcc_lo, 0x40f, v65
	v_and_b32_e32 v13, 0xffff, v13
	v_or_b32_e32 v29, 0x1000, v9
	v_and_or_b32 v15, 0x1ff, v16, v15
	v_med3_i32 v26, v26, 0, 13
	s_wait_alu 0xfffd
	v_cndmask_b32_e32 v20, v20, v22, vcc_lo
	v_lshrrev_b32_e32 v22, 16, v34
	v_lshl_or_b32 v19, v14, 16, v13
	v_add_co_u32 v13, s1, v42, s22
	s_wait_alu 0xf1ff
	v_add_co_ci_u32_e64 v14, s1, s23, v43, s1
	v_and_b32_e32 v28, 7, v4
	v_and_or_b32 v20, 0x8000, v22, v20
	v_lshrrev_b32_e32 v22, v26, v29
	v_cmp_ne_u32_e64 s1, 0, v15
	v_bfe_u32 v30, v16, 20, 11
	v_cmp_lt_i32_e32 vcc_lo, 5, v28
	v_cmp_eq_u32_e64 s0, 3, v28
	v_lshrrev_b32_e32 v28, 8, v16
	s_wait_alu 0xf1ff
	v_cndmask_b32_e64 v15, 0, 1, s1
	v_lshlrev_b32_e32 v24, v26, v22
	v_lshrrev_b32_e32 v4, 2, v4
	v_sub_nc_u32_e32 v26, 0x3f1, v30
	s_or_b32 vcc_lo, s0, vcc_lo
	v_and_or_b32 v15, 0xffe, v28, v15
	v_cmp_ne_u32_e64 s1, v24, v29
	s_wait_alu 0xfffe
	v_add_co_ci_u32_e32 v27, vcc_lo, 0, v4, vcc_lo
	v_med3_i32 v26, v26, 0, 13
	v_or_b32_e32 v24, 0x1000, v15
	s_wait_alu 0xf1ff
	v_cndmask_b32_e64 v11, 0, 1, s1
	v_cvt_f32_f16_e32 v5, v5
	v_cmp_ne_u32_e32 vcc_lo, 0, v0
	v_and_b32_e32 v20, 0xffff, v20
	v_lshrrev_b32_e32 v28, v26, v24
	v_or_b32_e32 v11, v22, v11
	v_lshl_or_b32 v22, v23, 12, v9
	v_cvt_f64_f32_e32 v[4:5], v5
	s_wait_alu 0xfffd
	v_cndmask_b32_e64 v0, 0, 1, vcc_lo
	v_cmp_gt_i32_e32 vcc_lo, 1, v23
	v_mul_f64_e32 v[17:18], s[24:25], v[17:18]
	global_store_b32 v[13:14], v19, off
	v_lshrrev_b32_e32 v16, 16, v16
	v_lshl_or_b32 v0, v0, 9, 0x7c00
	s_wait_alu 0xfffd
	v_cndmask_b32_e32 v11, v22, v11, vcc_lo
	v_lshlrev_b32_e32 v22, v26, v28
	v_cmp_gt_i32_e32 vcc_lo, 31, v25
	s_wait_alu 0xfffd
	v_cndmask_b32_e32 v26, 0x7c00, v27, vcc_lo
	s_delay_alu instid0(VALU_DEP_3)
	v_cmp_ne_u32_e32 vcc_lo, v22, v24
	v_and_b32_e32 v27, 7, v11
	v_add_nc_u32_e32 v24, 0xfffffc10, v30
	v_lshrrev_b32_e32 v11, 2, v11
	s_wait_alu 0xfffd
	v_cndmask_b32_e64 v22, 0, 1, vcc_lo
	v_cmp_eq_u32_e32 vcc_lo, 0x40f, v25
	v_cmp_eq_u32_e64 s0, 3, v27
	v_lshl_or_b32 v25, v24, 12, v15
	v_cmp_gt_i32_e64 s1, 1, v24
	v_or_b32_e32 v22, v28, v22
	s_wait_alu 0xfffd
	v_cndmask_b32_e32 v0, v26, v0, vcc_lo
	v_cmp_lt_i32_e32 vcc_lo, 5, v27
	v_lshrrev_b32_e32 v27, 16, v12
	s_wait_loadcnt 0x3
	v_lshrrev_b32_e32 v28, 16, v6
	s_wait_alu 0xf1ff
	v_cndmask_b32_e64 v22, v25, v22, s1
	v_and_or_b32 v25, 0x8000, v1, v0
	s_or_b32 vcc_lo, s0, vcc_lo
	s_wait_alu 0xfffe
	v_add_co_ci_u32_e32 v11, vcc_lo, 0, v11, vcc_lo
	v_cmp_gt_i32_e32 vcc_lo, 31, v23
	v_and_b32_e32 v26, 7, v22
	v_mul_f64_e32 v[0:1], s[24:25], v[4:5]
	v_lshrrev_b32_e32 v4, 2, v22
	v_mul_f16_e32 v5, v27, v28
	s_wait_alu 0xfffd
	v_cndmask_b32_e32 v11, 0x7c00, v11, vcc_lo
	v_cmp_ne_u32_e32 vcc_lo, 0, v9
	v_cmp_eq_u32_e64 s0, 3, v26
	v_and_or_b32 v17, 0x1ff, v18, v17
	v_fmac_f16_e32 v5, v12, v6
	v_lshl_or_b32 v19, v25, 16, v20
	s_wait_alu 0xfffd
	v_cndmask_b32_e64 v9, 0, 1, vcc_lo
	v_cmp_lt_i32_e32 vcc_lo, 5, v26
	v_bfe_u32 v26, v18, 20, 11
	v_cvt_f32_f16_e32 v5, v5
	s_delay_alu instid0(VALU_DEP_4) | instskip(SKIP_1) | instid1(VALU_DEP_3)
	v_lshl_or_b32 v9, v9, 9, 0x7c00
	s_or_b32 vcc_lo, s0, vcc_lo
	v_sub_nc_u32_e32 v29, 0x3f1, v26
	s_wait_alu 0xfffe
	v_add_co_ci_u32_e32 v22, vcc_lo, 0, v4, vcc_lo
	v_cmp_ne_u32_e32 vcc_lo, 0, v17
	v_lshrrev_b32_e32 v17, 8, v18
	v_med3_i32 v29, v29, 0, 13
	v_lshrrev_b32_e32 v18, 16, v18
	s_wait_alu 0xfffd
	v_cndmask_b32_e64 v4, 0, 1, vcc_lo
	v_cmp_ne_u32_e32 vcc_lo, 0, v15
	s_delay_alu instid0(VALU_DEP_2)
	v_and_or_b32 v17, 0xffe, v17, v4
	s_wait_alu 0xfffd
	v_cndmask_b32_e64 v15, 0, 1, vcc_lo
	v_cmp_gt_i32_e32 vcc_lo, 31, v24
	v_cvt_f64_f32_e32 v[4:5], v5
	v_or_b32_e32 v30, 0x1000, v17
	s_delay_alu instid0(VALU_DEP_4)
	v_lshl_or_b32 v15, v15, 9, 0x7c00
	s_wait_alu 0xfffd
	v_cndmask_b32_e32 v22, 0x7c00, v22, vcc_lo
	v_cmp_eq_u32_e32 vcc_lo, 0x40f, v23
	v_and_or_b32 v0, 0x1ff, v1, v0
	s_wait_alu 0xfffd
	v_cndmask_b32_e32 v9, v11, v9, vcc_lo
	v_lshrrev_b32_e32 v11, v29, v30
	v_cmp_eq_u32_e32 vcc_lo, 0x40f, v24
	s_delay_alu instid0(VALU_DEP_2)
	v_lshlrev_b32_e32 v20, v29, v11
	s_wait_alu 0xfffd
	v_cndmask_b32_e32 v15, v22, v15, vcc_lo
	v_and_or_b32 v22, 0x8000, v10, v9
	v_mul_f16_e32 v9, v12, v28
	v_cmp_ne_u32_e32 vcc_lo, v20, v30
	v_bfe_u32 v20, v1, 20, 11
	v_and_or_b32 v15, 0x8000, v16, v15
	s_delay_alu instid0(VALU_DEP_4)
	v_fma_f16 v6, v6, v27, -v9
	v_lshrrev_b32_e32 v9, 8, v1
	s_wait_alu 0xfffd
	v_cndmask_b32_e64 v10, 0, 1, vcc_lo
	v_cmp_ne_u32_e32 vcc_lo, 0, v0
	v_add_nc_u32_e32 v16, 0xfffffc10, v26
	v_cvt_f32_f16_e32 v6, v6
	v_sub_nc_u32_e32 v23, 0x3f1, v20
	v_or_b32_e32 v11, v11, v10
	s_wait_alu 0xfffd
	v_cndmask_b32_e64 v0, 0, 1, vcc_lo
	v_lshl_or_b32 v12, v16, 12, v17
	v_cmp_gt_i32_e32 vcc_lo, 1, v16
	v_med3_i32 v23, v23, 0, 13
	v_and_b32_e32 v22, 0xffff, v22
	v_and_or_b32 v0, 0xffe, v9, v0
	v_cvt_f64_f32_e32 v[9:10], v6
	s_wait_alu 0xfffd
	v_cndmask_b32_e32 v24, v12, v11, vcc_lo
	ds_load_2addr_b32 v[11:12], v3 offset0:111 offset1:166
	v_mul_f64_e32 v[3:4], s[24:25], v[4:5]
	v_or_b32_e32 v25, 0x1000, v0
	v_lshl_or_b32 v22, v15, 16, v22
	v_add_nc_u32_e32 v15, 0xfffffc10, v20
	v_and_b32_e32 v26, 7, v24
	v_add_co_u32 v5, vcc_lo, v13, s22
	v_lshrrev_b32_e32 v27, v23, v25
	s_wait_alu 0xfffd
	v_add_co_ci_u32_e32 v6, vcc_lo, s23, v14, vcc_lo
	v_cmp_lt_i32_e32 vcc_lo, 5, v26
	v_cmp_eq_u32_e64 s0, 3, v26
	v_lshlrev_b32_e32 v13, v23, v27
	v_lshrrev_b32_e32 v14, 2, v24
	s_wait_loadcnt 0x2
	v_lshrrev_b32_e32 v23, 16, v7
	v_lshl_or_b32 v24, v15, 12, v0
	s_or_b32 vcc_lo, s0, vcc_lo
	v_cmp_ne_u32_e64 s1, v13, v25
	s_wait_alu 0xfffe
	v_add_co_ci_u32_e32 v14, vcc_lo, 0, v14, vcc_lo
	v_cmp_ne_u32_e32 vcc_lo, 0, v17
	s_wait_dscnt 0x0
	v_lshrrev_b32_e32 v20, 16, v11
	s_wait_alu 0xf1ff
	v_cndmask_b32_e64 v13, 0, 1, s1
	s_wait_alu 0xfffd
	v_cndmask_b32_e64 v17, 0, 1, vcc_lo
	v_cmp_gt_i32_e32 vcc_lo, 1, v15
	s_delay_alu instid0(VALU_DEP_3) | instskip(SKIP_2) | instid1(VALU_DEP_2)
	v_or_b32_e32 v13, v27, v13
	v_mul_f16_e32 v25, v20, v23
	s_wait_alu 0xfffd
	v_cndmask_b32_e32 v24, v24, v13, vcc_lo
	v_cmp_gt_i32_e32 vcc_lo, 31, v16
	s_delay_alu instid0(VALU_DEP_3)
	v_fmac_f16_e32 v25, v11, v7
	v_mul_f64_e32 v[9:10], s[24:25], v[9:10]
	v_mul_f16_e32 v11, v11, v23
	s_wait_alu 0xfffd
	v_cndmask_b32_e32 v13, 0x7c00, v14, vcc_lo
	v_lshl_or_b32 v14, v17, 9, 0x7c00
	v_cmp_eq_u32_e32 vcc_lo, 0x40f, v16
	v_and_or_b32 v3, 0x1ff, v4, v3
	v_and_b32_e32 v17, 7, v24
	v_fma_f16 v7, v7, v20, -v11
	s_wait_alu 0xfffd
	v_cndmask_b32_e32 v16, v13, v14, vcc_lo
	v_cvt_f32_f16_e32 v13, v25
	v_cmp_ne_u32_e64 s1, 0, v3
	v_cmp_lt_i32_e32 vcc_lo, 5, v17
	v_cmp_eq_u32_e64 s0, 3, v17
	v_lshrrev_b32_e32 v17, 2, v24
	v_cvt_f64_f32_e32 v[13:14], v13
	s_wait_alu 0xf1ff
	v_cndmask_b32_e64 v3, 0, 1, s1
	v_lshrrev_b32_e32 v24, 8, v4
	v_bfe_u32 v25, v4, 20, 11
	s_or_b32 vcc_lo, s0, vcc_lo
	v_cvt_f32_f16_e32 v7, v7
	s_wait_alu 0xfffe
	v_add_co_ci_u32_e32 v17, vcc_lo, 0, v17, vcc_lo
	v_add_nc_u32_e32 v23, 0xfffffc10, v25
	v_and_or_b32 v3, 0xffe, v24, v3
	v_sub_nc_u32_e32 v24, 0x3f1, v25
	v_cmp_ne_u32_e32 vcc_lo, 0, v0
	v_and_or_b32 v16, 0x8000, v18, v16
	v_lshrrev_b32_e32 v4, 16, v4
	v_or_b32_e32 v26, 0x1000, v3
	v_med3_i32 v24, v24, 0, 13
	s_wait_alu 0xfffd
	v_cndmask_b32_e64 v0, 0, 1, vcc_lo
	v_cmp_gt_i32_e32 vcc_lo, 31, v15
	v_and_b32_e32 v27, 0xffff, v16
	v_lshrrev_b32_e32 v18, v24, v26
	s_delay_alu instid0(VALU_DEP_4)
	v_lshl_or_b32 v0, v0, 9, 0x7c00
	s_wait_alu 0xfffd
	v_cndmask_b32_e32 v17, 0x7c00, v17, vcc_lo
	v_cmp_eq_u32_e32 vcc_lo, 0x40f, v15
	v_and_or_b32 v9, 0x1ff, v10, v9
	v_lshlrev_b32_e32 v24, v24, v18
	v_lshrrev_b32_e32 v11, 8, v10
	v_bfe_u32 v20, v10, 20, 11
	s_wait_alu 0xfffd
	v_cndmask_b32_e32 v15, v17, v0, vcc_lo
	v_add_co_u32 v0, vcc_lo, v5, s22
	v_lshrrev_b32_e32 v17, 16, v1
	s_wait_alu 0xfffd
	v_add_co_ci_u32_e32 v1, vcc_lo, s23, v6, vcc_lo
	v_cmp_ne_u32_e32 vcc_lo, v24, v26
	v_lshl_or_b32 v24, v23, 12, v3
	v_and_or_b32 v17, 0x8000, v17, v15
	global_store_b32 v[5:6], v19, off
	global_store_b32 v[0:1], v22, off
	v_mul_f64_e32 v[13:14], s[24:25], v[13:14]
	s_wait_alu 0xfffd
	v_cndmask_b32_e64 v15, 0, 1, vcc_lo
	v_cmp_ne_u32_e32 vcc_lo, 0, v9
	v_lshrrev_b32_e32 v19, 16, v12
	s_wait_loadcnt 0x1
	v_lshrrev_b32_e32 v22, 16, v8
	v_lshrrev_b32_e32 v10, 16, v10
	v_or_b32_e32 v18, v18, v15
	s_wait_alu 0xfffd
	v_cndmask_b32_e64 v9, 0, 1, vcc_lo
	v_cmp_gt_i32_e32 vcc_lo, 1, v23
	v_cvt_f64_f32_e32 v[15:16], v7
	s_delay_alu instid0(VALU_DEP_3)
	v_and_or_b32 v9, 0xffe, v11, v9
	v_sub_nc_u32_e32 v11, 0x3f1, v20
	s_wait_alu 0xfffd
	v_cndmask_b32_e32 v7, v24, v18, vcc_lo
	v_add_co_u32 v0, vcc_lo, v0, s22
	v_or_b32_e32 v18, 0x1000, v9
	v_med3_i32 v11, v11, 0, 13
	s_delay_alu instid0(VALU_DEP_4) | instskip(SKIP_2) | instid1(VALU_DEP_3)
	v_and_b32_e32 v5, 7, v7
	s_wait_alu 0xfffd
	v_add_co_ci_u32_e32 v1, vcc_lo, s23, v1, vcc_lo
	v_lshrrev_b32_e32 v6, v11, v18
	s_delay_alu instid0(VALU_DEP_3) | instskip(SKIP_2) | instid1(VALU_DEP_4)
	v_cmp_lt_i32_e32 vcc_lo, 5, v5
	v_cmp_eq_u32_e64 s0, 3, v5
	v_lshrrev_b32_e32 v5, 2, v7
	v_lshlrev_b32_e32 v11, v11, v6
	s_delay_alu instid0(VALU_DEP_3) | instskip(NEXT) | instid1(VALU_DEP_1)
	s_or_b32 vcc_lo, s0, vcc_lo
	v_cmp_ne_u32_e64 s1, v11, v18
	v_mul_f16_e32 v18, v19, v22
	v_add_nc_u32_e32 v11, 0xfffffc10, v20
	s_wait_alu 0xfffe
	v_add_co_ci_u32_e32 v20, vcc_lo, 0, v5, vcc_lo
	s_wait_alu 0xf1ff
	v_cndmask_b32_e64 v7, 0, 1, s1
	v_cmp_ne_u32_e32 vcc_lo, 0, v3
	v_fmac_f16_e32 v18, v12, v8
	v_bfe_u32 v24, v14, 20, 11
	v_cmp_eq_u32_e64 s1, 0x40f, v23
	v_or_b32_e32 v5, v6, v7
	v_lshl_or_b32 v6, v11, 12, v9
	v_and_or_b32 v7, 0x1ff, v14, v13
	s_wait_alu 0xfffd
	v_cndmask_b32_e64 v3, 0, 1, vcc_lo
	v_cmp_gt_i32_e32 vcc_lo, 1, v11
	v_cvt_f32_f16_e32 v13, v18
	v_mul_f64_e32 v[15:16], s[24:25], v[15:16]
	s_delay_alu instid0(VALU_DEP_4)
	v_lshl_or_b32 v3, v3, 9, 0x7c00
	s_wait_alu 0xfffd
	v_cndmask_b32_e32 v18, v6, v5, vcc_lo
	v_cmp_ne_u32_e32 vcc_lo, 0, v7
	v_cvt_f64_f32_e32 v[5:6], v13
	v_lshrrev_b32_e32 v13, 8, v14
	v_lshrrev_b32_e32 v14, 16, v14
	v_and_b32_e32 v25, 7, v18
	s_wait_alu 0xfffd
	v_cndmask_b32_e64 v7, 0, 1, vcc_lo
	v_cmp_gt_i32_e32 vcc_lo, 31, v23
	v_lshrrev_b32_e32 v18, 2, v18
	v_lshl_or_b32 v17, v17, 16, v27
	v_cmp_eq_u32_e64 s0, 3, v25
	v_and_or_b32 v13, 0xffe, v13, v7
	v_sub_nc_u32_e32 v7, 0x3f1, v24
	s_wait_alu 0xfffd
	v_cndmask_b32_e32 v20, 0x7c00, v20, vcc_lo
	v_cmp_lt_i32_e32 vcc_lo, 5, v25
	v_or_b32_e32 v25, 0x1000, v13
	v_med3_i32 v7, v7, 0, 13
	s_wait_alu 0xf1ff
	v_cndmask_b32_e64 v3, v20, v3, s1
	s_or_b32 vcc_lo, s0, vcc_lo
	s_wait_alu 0xfffe
	v_add_co_ci_u32_e32 v18, vcc_lo, 0, v18, vcc_lo
	v_lshrrev_b32_e32 v20, v7, v25
	v_cmp_ne_u32_e32 vcc_lo, 0, v9
	v_and_or_b32 v23, 0x8000, v4, v3
	s_delay_alu instid0(VALU_DEP_3) | instskip(SKIP_3) | instid1(VALU_DEP_2)
	v_lshlrev_b32_e32 v7, v7, v20
	s_wait_alu 0xfffd
	v_cndmask_b32_e64 v9, 0, 1, vcc_lo
	v_cmp_gt_i32_e32 vcc_lo, 31, v11
	v_lshl_or_b32 v4, v9, 9, 0x7c00
	s_wait_alu 0xfffd
	v_cndmask_b32_e32 v3, 0x7c00, v18, vcc_lo
	v_cmp_ne_u32_e32 vcc_lo, v7, v25
	v_add_nc_u32_e32 v18, 0xfffffc10, v24
	s_wait_alu 0xfffd
	v_cndmask_b32_e64 v7, 0, 1, vcc_lo
	v_cmp_eq_u32_e32 vcc_lo, 0x40f, v11
	v_mul_f16_e32 v11, v12, v22
	v_lshl_or_b32 v12, v18, 12, v13
	v_and_b32_e32 v22, 0xffff, v23
	v_or_b32_e32 v7, v20, v7
	s_wait_alu 0xfffd
	v_cndmask_b32_e32 v9, v3, v4, vcc_lo
	v_mul_f64_e32 v[4:5], s[24:25], v[5:6]
	ds_load_2addr_b32 v[2:3], v2 offset0:93 offset1:148
	v_and_or_b32 v6, 0x1ff, v16, v15
	v_cmp_gt_i32_e32 vcc_lo, 1, v18
	v_fma_f16 v8, v8, v19, -v11
	v_and_or_b32 v9, 0x8000, v10, v9
	s_wait_loadcnt 0x0
	v_lshrrev_b32_e32 v20, 16, v21
	s_wait_alu 0xfffd
	v_cndmask_b32_e32 v11, v12, v7, vcc_lo
	v_cmp_ne_u32_e32 vcc_lo, 0, v6
	v_lshrrev_b32_e32 v7, 8, v16
	v_cvt_f32_f16_e32 v8, v8
	v_bfe_u32 v12, v16, 20, 11
	v_and_b32_e32 v10, 7, v11
	s_wait_alu 0xfffd
	v_cndmask_b32_e64 v6, 0, 1, vcc_lo
	v_lshl_or_b32 v22, v9, 16, v22
	v_lshrrev_b32_e32 v9, 2, v11
	v_cmp_lt_i32_e32 vcc_lo, 5, v10
	s_delay_alu instid0(VALU_DEP_4)
	v_and_or_b32 v15, 0xffe, v7, v6
	v_cvt_f64_f32_e32 v[6:7], v8
	v_sub_nc_u32_e32 v8, 0x3f1, v12
	v_cmp_eq_u32_e64 s0, 3, v10
	s_wait_dscnt 0x0
	v_lshrrev_b32_e32 v19, 16, v2
	v_or_b32_e32 v23, 0x1000, v15
	v_med3_i32 v8, v8, 0, 13
	s_or_b32 vcc_lo, s0, vcc_lo
	s_delay_alu instid0(VALU_DEP_3)
	v_mul_f16_e32 v24, v19, v20
	s_wait_alu 0xfffe
	v_add_co_ci_u32_e32 v9, vcc_lo, 0, v9, vcc_lo
	v_lshrrev_b32_e32 v10, v8, v23
	v_cmp_ne_u32_e32 vcc_lo, 0, v13
	v_fmac_f16_e32 v24, v2, v21
	v_mul_f16_e32 v2, v2, v20
	s_delay_alu instid0(VALU_DEP_4)
	v_lshlrev_b32_e32 v13, v8, v10
	s_wait_alu 0xfffd
	v_cndmask_b32_e64 v11, 0, 1, vcc_lo
	v_cmp_gt_i32_e32 vcc_lo, 31, v18
	v_cvt_f32_f16_e32 v8, v24
	v_and_or_b32 v4, 0x1ff, v5, v4
	v_bfe_u32 v20, v5, 20, 11
	v_lshl_or_b32 v25, v11, 9, 0x7c00
	s_wait_alu 0xfffd
	v_cndmask_b32_e32 v24, 0x7c00, v9, vcc_lo
	v_cmp_ne_u32_e32 vcc_lo, v13, v23
	v_add_nc_u32_e32 v23, 0xfffffc10, v12
	v_cvt_f64_f32_e32 v[8:9], v8
	v_lshrrev_b32_e32 v12, 8, v5
	v_fma_f16 v2, v21, v19, -v2
	s_wait_alu 0xfffd
	v_cndmask_b32_e64 v11, 0, 1, vcc_lo
	v_cmp_ne_u32_e32 vcc_lo, 0, v4
	v_lshrrev_b32_e32 v5, 16, v5
	v_cvt_f32_f16_e32 v2, v2
	s_delay_alu instid0(VALU_DEP_4)
	v_or_b32_e32 v10, v10, v11
	s_wait_alu 0xfffd
	v_cndmask_b32_e64 v4, 0, 1, vcc_lo
	v_lshl_or_b32 v11, v23, 12, v15
	v_cmp_gt_i32_e32 vcc_lo, 1, v23
	v_mul_f64_e32 v[6:7], s[24:25], v[6:7]
	s_delay_alu instid0(VALU_DEP_4)
	v_and_or_b32 v4, 0xffe, v12, v4
	v_sub_nc_u32_e32 v12, 0x3f1, v20
	s_wait_alu 0xfffd
	v_cndmask_b32_e32 v19, v11, v10, vcc_lo
	v_cmp_eq_u32_e32 vcc_lo, 0x40f, v18
	v_cvt_f64_f32_e32 v[10:11], v2
	v_or_b32_e32 v21, 0x1000, v4
	v_med3_i32 v26, v12, 0, 13
	v_and_b32_e32 v18, 7, v19
	s_wait_alu 0xfffd
	v_cndmask_b32_e32 v2, v24, v25, vcc_lo
	v_add_co_u32 v12, vcc_lo, v0, s22
	s_wait_alu 0xfffd
	v_add_co_ci_u32_e32 v13, vcc_lo, s23, v1, vcc_lo
	v_cmp_lt_i32_e32 vcc_lo, 5, v18
	v_cmp_eq_u32_e64 s0, 3, v18
	v_and_or_b32 v2, 0x8000, v14, v2
	v_lshrrev_b32_e32 v14, 2, v19
	v_lshrrev_b32_e32 v24, v26, v21
	s_delay_alu instid0(VALU_DEP_4) | instskip(NEXT) | instid1(VALU_DEP_3)
	s_or_b32 vcc_lo, s0, vcc_lo
	v_and_b32_e32 v2, 0xffff, v2
	s_wait_alu 0xfffe
	v_add_co_ci_u32_e32 v14, vcc_lo, 0, v14, vcc_lo
	v_cmp_ne_u32_e32 vcc_lo, 0, v15
	v_mul_f64_e32 v[8:9], s[24:25], v[8:9]
	s_wait_alu 0xfffd
	v_cndmask_b32_e64 v15, 0, 1, vcc_lo
	v_cmp_gt_i32_e32 vcc_lo, 31, v23
	v_lshlrev_b32_e32 v25, v26, v24
	s_delay_alu instid0(VALU_DEP_3) | instskip(SKIP_2) | instid1(VALU_DEP_3)
	v_lshl_or_b32 v15, v15, 9, 0x7c00
	s_wait_alu 0xfffd
	v_cndmask_b32_e32 v14, 0x7c00, v14, vcc_lo
	v_cmp_ne_u32_e64 s1, v25, v21
	v_add_nc_u32_e32 v19, 0xfffffc10, v20
	v_and_or_b32 v6, 0x1ff, v7, v6
	v_bfe_u32 v21, v7, 20, 11
	s_wait_alu 0xf1ff
	v_cndmask_b32_e64 v18, 0, 1, s1
	v_lshl_or_b32 v20, v19, 12, v4
	v_cmp_gt_i32_e32 vcc_lo, 1, v19
	v_mul_f64_e32 v[10:11], s[24:25], v[10:11]
	s_delay_alu instid0(VALU_DEP_4) | instskip(SKIP_1) | instid1(VALU_DEP_1)
	v_or_b32_e32 v18, v24, v18
	s_wait_alu 0xfffd
	v_cndmask_b32_e32 v18, v20, v18, vcc_lo
	v_cmp_eq_u32_e32 vcc_lo, 0x40f, v23
	v_lshrrev_b32_e32 v20, 8, v7
	v_lshrrev_b32_e32 v7, 16, v7
	s_wait_alu 0xfffd
	v_cndmask_b32_e32 v14, v14, v15, vcc_lo
	v_lshrrev_b32_e32 v15, 16, v16
	v_cmp_ne_u32_e32 vcc_lo, 0, v6
	v_and_b32_e32 v16, 7, v18
	s_delay_alu instid0(VALU_DEP_3) | instskip(SKIP_2) | instid1(VALU_DEP_3)
	v_and_or_b32 v14, 0x8000, v15, v14
	s_wait_alu 0xfffd
	v_cndmask_b32_e64 v6, 0, 1, vcc_lo
	v_cmp_lt_i32_e32 vcc_lo, 5, v16
	v_cmp_eq_u32_e64 s0, 3, v16
	v_sub_nc_u32_e32 v15, 0x3f1, v21
	v_lshl_or_b32 v2, v14, 16, v2
	v_lshrrev_b32_e32 v14, 2, v18
	v_and_or_b32 v6, 0xffe, v20, v6
	s_or_b32 vcc_lo, s0, vcc_lo
	v_med3_i32 v15, v15, 0, 13
	v_and_or_b32 v8, 0x1ff, v9, v8
	s_wait_alu 0xfffe
	v_add_co_ci_u32_e32 v14, vcc_lo, 0, v14, vcc_lo
	v_or_b32_e32 v16, 0x1000, v6
	v_cmp_ne_u32_e32 vcc_lo, 0, v4
	v_lshrrev_b32_e32 v20, 8, v9
	v_bfe_u32 v23, v9, 20, 11
	v_lshrrev_b32_e32 v9, 16, v9
	v_lshrrev_b32_e32 v18, v15, v16
	s_wait_alu 0xfffd
	v_cndmask_b32_e64 v4, 0, 1, vcc_lo
	v_cmp_gt_i32_e32 vcc_lo, 31, v19
	v_and_or_b32 v10, 0x1ff, v11, v10
	v_lshlrev_b32_e32 v15, v15, v18
	s_delay_alu instid0(VALU_DEP_4)
	v_lshl_or_b32 v4, v4, 9, 0x7c00
	s_wait_alu 0xfffd
	v_cndmask_b32_e32 v14, 0x7c00, v14, vcc_lo
	v_cmp_ne_u32_e32 vcc_lo, 0, v8
	s_wait_alu 0xfffd
	v_cndmask_b32_e64 v8, 0, 1, vcc_lo
	v_cmp_ne_u32_e32 vcc_lo, v15, v16
	v_add_nc_u32_e32 v16, 0xfffffc10, v21
	v_bfe_u32 v21, v11, 20, 11
	s_delay_alu instid0(VALU_DEP_4) | instskip(SKIP_4) | instid1(VALU_DEP_2)
	v_and_or_b32 v8, 0xffe, v20, v8
	s_wait_alu 0xfffd
	v_cndmask_b32_e64 v15, 0, 1, vcc_lo
	v_sub_nc_u32_e32 v20, 0x3f1, v23
	v_cmp_eq_u32_e32 vcc_lo, 0x40f, v19
	v_med3_i32 v19, v20, 0, 13
	s_wait_alu 0xfffd
	v_cndmask_b32_e32 v4, v14, v4, vcc_lo
	v_or_b32_e32 v14, v18, v15
	v_lshl_or_b32 v15, v16, 12, v6
	v_or_b32_e32 v18, 0x1000, v8
	v_cmp_gt_i32_e32 vcc_lo, 1, v16
	v_lshrrev_b32_e32 v20, 8, v11
	v_and_or_b32 v4, 0x8000, v5, v4
	s_wait_alu 0xfffd
	v_cndmask_b32_e32 v14, v15, v14, vcc_lo
	v_lshrrev_b32_e32 v15, v19, v18
	v_cmp_ne_u32_e32 vcc_lo, 0, v10
	s_delay_alu instid0(VALU_DEP_3) | instskip(NEXT) | instid1(VALU_DEP_3)
	v_and_b32_e32 v24, 7, v14
	v_lshlrev_b32_e32 v19, v19, v15
	s_wait_alu 0xfffd
	v_cndmask_b32_e64 v10, 0, 1, vcc_lo
	v_lshrrev_b32_e32 v14, 2, v14
	v_cmp_lt_i32_e32 vcc_lo, 5, v24
	v_cmp_ne_u32_e64 s0, v19, v18
	s_delay_alu instid0(VALU_DEP_4)
	v_and_or_b32 v5, 0xffe, v20, v10
	v_sub_nc_u32_e32 v10, 0x3f1, v21
	v_add_nc_u32_e32 v20, 0xfffffc10, v23
	s_wait_alu 0xf1ff
	v_cndmask_b32_e64 v18, 0, 1, s0
	v_cmp_eq_u32_e64 s0, 3, v24
	v_or_b32_e32 v19, 0x1000, v5
	v_med3_i32 v10, v10, 0, 13
	v_lshl_or_b32 v23, v20, 12, v8
	v_or_b32_e32 v15, v15, v18
	s_or_b32 vcc_lo, s0, vcc_lo
	s_wait_alu 0xfffe
	v_add_co_ci_u32_e32 v14, vcc_lo, 0, v14, vcc_lo
	v_lshrrev_b32_e32 v18, v10, v19
	v_cmp_gt_i32_e32 vcc_lo, 1, v20
	s_wait_alu 0xfffd
	s_delay_alu instid0(VALU_DEP_2) | instskip(SKIP_3) | instid1(VALU_DEP_3)
	v_dual_cndmask_b32 v15, v23, v15 :: v_dual_lshlrev_b32 v10, v10, v18
	v_cmp_ne_u32_e32 vcc_lo, 0, v6
	s_wait_alu 0xfffd
	v_cndmask_b32_e64 v6, 0, 1, vcc_lo
	v_cmp_ne_u32_e32 vcc_lo, v10, v19
	v_add_nc_u32_e32 v19, 0xfffffc10, v21
	v_and_b32_e32 v21, 7, v15
	s_delay_alu instid0(VALU_DEP_4)
	v_lshl_or_b32 v6, v6, 9, 0x7c00
	s_wait_alu 0xfffd
	v_cndmask_b32_e64 v10, 0, 1, vcc_lo
	v_cmp_gt_i32_e32 vcc_lo, 31, v16
	v_cmp_gt_i32_e64 s1, 1, v19
	v_cmp_eq_u32_e64 s0, 3, v21
	s_delay_alu instid0(VALU_DEP_4)
	v_or_b32_e32 v10, v18, v10
	v_lshl_or_b32 v18, v19, 12, v5
	s_wait_alu 0xfffd
	v_cndmask_b32_e32 v14, 0x7c00, v14, vcc_lo
	v_cmp_lt_i32_e32 vcc_lo, 5, v21
	s_wait_alu 0xf1ff
	v_cndmask_b32_e64 v10, v18, v10, s1
	v_cmp_eq_u32_e64 s1, 0x40f, v16
	s_or_b32 vcc_lo, s0, vcc_lo
	s_delay_alu instid0(VALU_DEP_1) | instskip(SKIP_2) | instid1(VALU_DEP_3)
	v_cndmask_b32_e64 v6, v14, v6, s1
	v_lshrrev_b32_e32 v14, 2, v15
	v_cmp_gt_i32_e64 s1, 31, v20
	v_and_or_b32 v6, 0x8000, v7, v6
	s_wait_alu 0xfffe
	s_delay_alu instid0(VALU_DEP_3) | instskip(SKIP_3) | instid1(VALU_DEP_3)
	v_add_co_ci_u32_e32 v14, vcc_lo, 0, v14, vcc_lo
	v_cmp_ne_u32_e32 vcc_lo, 0, v8
	v_and_b32_e32 v7, 0xffff, v4
	s_wait_alu 0xf1ff
	v_cndmask_b32_e64 v14, 0x7c00, v14, s1
	s_wait_alu 0xfffd
	v_cndmask_b32_e64 v8, 0, 1, vcc_lo
	s_delay_alu instid0(VALU_DEP_1) | instskip(SKIP_2) | instid1(VALU_DEP_2)
	v_lshl_or_b32 v8, v8, 9, 0x7c00
	v_and_b32_e32 v15, 7, v10
	v_lshrrev_b32_e32 v10, 2, v10
	v_cmp_lt_i32_e32 vcc_lo, 5, v15
	v_cmp_eq_u32_e64 s0, 3, v15
	s_delay_alu instid0(VALU_DEP_1)
	s_or_b32 vcc_lo, s0, vcc_lo
	s_wait_alu 0xfffe
	v_add_co_ci_u32_e32 v10, vcc_lo, 0, v10, vcc_lo
	v_cmp_ne_u32_e32 vcc_lo, 0, v5
	s_wait_alu 0xfffd
	v_cndmask_b32_e64 v5, 0, 1, vcc_lo
	v_cmp_eq_u32_e32 vcc_lo, 0x40f, v20
	s_delay_alu instid0(VALU_DEP_2) | instskip(SKIP_3) | instid1(VALU_DEP_2)
	v_lshl_or_b32 v5, v5, 9, 0x7c00
	s_wait_alu 0xfffd
	v_cndmask_b32_e32 v8, v14, v8, vcc_lo
	v_cmp_gt_i32_e32 vcc_lo, 31, v19
	v_and_or_b32 v8, 0x8000, v9, v8
	s_wait_alu 0xfffd
	v_cndmask_b32_e32 v10, 0x7c00, v10, vcc_lo
	v_cmp_eq_u32_e32 vcc_lo, 0x40f, v19
	s_wait_alu 0xfffd
	s_delay_alu instid0(VALU_DEP_2)
	v_dual_cndmask_b32 v9, v10, v5 :: v_dual_and_b32 v8, 0xffff, v8
	v_lshrrev_b32_e32 v10, 16, v11
	v_add_co_u32 v4, vcc_lo, v12, s22
	s_wait_alu 0xfffd
	v_add_co_ci_u32_e32 v5, vcc_lo, s23, v13, vcc_lo
	v_lshl_or_b32 v11, v6, 16, v7
	v_and_or_b32 v9, 0x8000, v10, v9
	v_add_co_u32 v6, vcc_lo, v4, s22
	s_wait_alu 0xfffd
	v_add_co_ci_u32_e32 v7, vcc_lo, s23, v5, vcc_lo
	s_delay_alu instid0(VALU_DEP_3) | instskip(NEXT) | instid1(VALU_DEP_3)
	v_lshl_or_b32 v10, v9, 16, v8
	v_add_co_u32 v8, vcc_lo, v6, s22
	s_wait_alu 0xfffd
	s_delay_alu instid0(VALU_DEP_3)
	v_add_co_ci_u32_e32 v9, vcc_lo, s23, v7, vcc_lo
	global_store_b32 v[0:1], v17, off
	global_store_b32 v[12:13], v22, off
	;; [unrolled: 1-line block ×5, first 2 shown]
	global_load_b32 v0, v39, s[20:21] offset:2640
	v_lshrrev_b32_e32 v1, 16, v3
	s_wait_loadcnt 0x0
	v_lshrrev_b32_e32 v2, 16, v0
	s_delay_alu instid0(VALU_DEP_1) | instskip(SKIP_1) | instid1(VALU_DEP_2)
	v_mul_f16_e32 v4, v1, v2
	v_mul_f16_e32 v2, v3, v2
	v_fmac_f16_e32 v4, v3, v0
	s_delay_alu instid0(VALU_DEP_2) | instskip(NEXT) | instid1(VALU_DEP_2)
	v_fma_f16 v0, v0, v1, -v2
	v_cvt_f32_f16_e32 v1, v4
	s_delay_alu instid0(VALU_DEP_2) | instskip(NEXT) | instid1(VALU_DEP_2)
	v_cvt_f32_f16_e32 v2, v0
	v_cvt_f64_f32_e32 v[0:1], v1
	s_delay_alu instid0(VALU_DEP_2) | instskip(NEXT) | instid1(VALU_DEP_2)
	v_cvt_f64_f32_e32 v[2:3], v2
	v_mul_f64_e32 v[0:1], s[24:25], v[0:1]
	s_delay_alu instid0(VALU_DEP_2) | instskip(NEXT) | instid1(VALU_DEP_2)
	v_mul_f64_e32 v[2:3], s[24:25], v[2:3]
	v_and_or_b32 v0, 0x1ff, v1, v0
	s_delay_alu instid0(VALU_DEP_2)
	v_and_or_b32 v2, 0x1ff, v3, v2
	v_lshrrev_b32_e32 v4, 8, v1
	v_bfe_u32 v5, v1, 20, 11
	v_lshrrev_b32_e32 v6, 8, v3
	v_cmp_ne_u32_e32 vcc_lo, 0, v0
	v_bfe_u32 v7, v3, 20, 11
	v_lshrrev_b32_e32 v1, 16, v1
	v_lshrrev_b32_e32 v3, 16, v3
	s_wait_alu 0xfffd
	v_cndmask_b32_e64 v0, 0, 1, vcc_lo
	v_cmp_ne_u32_e32 vcc_lo, 0, v2
	s_delay_alu instid0(VALU_DEP_2) | instskip(SKIP_3) | instid1(VALU_DEP_3)
	v_and_or_b32 v0, 0xffe, v4, v0
	v_sub_nc_u32_e32 v4, 0x3f1, v5
	s_wait_alu 0xfffd
	v_cndmask_b32_e64 v2, 0, 1, vcc_lo
	v_or_b32_e32 v10, 0x1000, v0
	s_delay_alu instid0(VALU_DEP_3) | instskip(NEXT) | instid1(VALU_DEP_3)
	v_med3_i32 v4, v4, 0, 13
	v_and_or_b32 v2, 0xffe, v6, v2
	v_sub_nc_u32_e32 v6, 0x3f1, v7
	v_add_nc_u32_e32 v7, 0xfffffc10, v7
	s_delay_alu instid0(VALU_DEP_4) | instskip(NEXT) | instid1(VALU_DEP_4)
	v_lshrrev_b32_e32 v12, v4, v10
	v_or_b32_e32 v11, 0x1000, v2
	s_delay_alu instid0(VALU_DEP_4) | instskip(NEXT) | instid1(VALU_DEP_3)
	v_med3_i32 v6, v6, 0, 13
	v_lshlrev_b32_e32 v4, v4, v12
	s_delay_alu instid0(VALU_DEP_2) | instskip(NEXT) | instid1(VALU_DEP_2)
	v_lshrrev_b32_e32 v13, v6, v11
	v_cmp_ne_u32_e32 vcc_lo, v4, v10
	s_delay_alu instid0(VALU_DEP_2) | instskip(SKIP_2) | instid1(VALU_DEP_2)
	v_lshlrev_b32_e32 v6, v6, v13
	s_wait_alu 0xfffd
	v_cndmask_b32_e64 v4, 0, 1, vcc_lo
	v_cmp_ne_u32_e32 vcc_lo, v6, v11
	v_lshl_or_b32 v11, v7, 12, v2
	s_delay_alu instid0(VALU_DEP_3) | instskip(SKIP_3) | instid1(VALU_DEP_2)
	v_or_b32_e32 v4, v12, v4
	v_add_nc_u32_e32 v5, 0xfffffc10, v5
	s_wait_alu 0xfffd
	v_cndmask_b32_e64 v6, 0, 1, vcc_lo
	v_lshl_or_b32 v10, v5, 12, v0
	v_cmp_gt_i32_e32 vcc_lo, 1, v5
	s_delay_alu instid0(VALU_DEP_3) | instskip(SKIP_1) | instid1(VALU_DEP_3)
	v_or_b32_e32 v6, v13, v6
	s_wait_alu 0xfffd
	v_cndmask_b32_e32 v4, v10, v4, vcc_lo
	v_cmp_gt_i32_e32 vcc_lo, 1, v7
	s_delay_alu instid0(VALU_DEP_2) | instskip(SKIP_3) | instid1(VALU_DEP_3)
	v_and_b32_e32 v10, 7, v4
	s_wait_alu 0xfffd
	v_cndmask_b32_e32 v6, v11, v6, vcc_lo
	v_lshrrev_b32_e32 v4, 2, v4
	v_cmp_lt_i32_e32 vcc_lo, 5, v10
	v_cmp_eq_u32_e64 s0, 3, v10
	s_delay_alu instid0(VALU_DEP_1)
	s_or_b32 vcc_lo, s0, vcc_lo
	s_wait_alu 0xfffe
	v_add_co_ci_u32_e32 v4, vcc_lo, 0, v4, vcc_lo
	v_and_b32_e32 v11, 7, v6
	v_cmp_ne_u32_e32 vcc_lo, 0, v0
	v_lshrrev_b32_e32 v6, 2, v6
	s_delay_alu instid0(VALU_DEP_3) | instskip(SKIP_3) | instid1(VALU_DEP_2)
	v_cmp_lt_i32_e64 s1, 5, v11
	v_cmp_eq_u32_e64 s2, 3, v11
	s_wait_alu 0xfffd
	v_cndmask_b32_e64 v0, 0, 1, vcc_lo
	s_or_b32 vcc_lo, s2, s1
	s_delay_alu instid0(VALU_DEP_1)
	v_lshl_or_b32 v0, v0, 9, 0x7c00
	s_wait_alu 0xfffe
	v_add_co_ci_u32_e32 v6, vcc_lo, 0, v6, vcc_lo
	v_cmp_ne_u32_e32 vcc_lo, 0, v2
	s_wait_alu 0xfffd
	v_cndmask_b32_e64 v2, 0, 1, vcc_lo
	v_cmp_gt_i32_e32 vcc_lo, 31, v5
	s_delay_alu instid0(VALU_DEP_2)
	v_lshl_or_b32 v2, v2, 9, 0x7c00
	s_wait_alu 0xfffd
	v_cndmask_b32_e32 v4, 0x7c00, v4, vcc_lo
	v_cmp_gt_i32_e32 vcc_lo, 31, v7
	s_wait_alu 0xfffd
	v_cndmask_b32_e32 v6, 0x7c00, v6, vcc_lo
	v_cmp_eq_u32_e32 vcc_lo, 0x40f, v5
	s_wait_alu 0xfffd
	v_cndmask_b32_e32 v0, v4, v0, vcc_lo
	v_cmp_eq_u32_e32 vcc_lo, 0x40f, v7
	s_delay_alu instid0(VALU_DEP_2) | instskip(SKIP_2) | instid1(VALU_DEP_2)
	v_and_or_b32 v0, 0x8000, v1, v0
	s_wait_alu 0xfffd
	v_cndmask_b32_e32 v2, v6, v2, vcc_lo
	v_and_b32_e32 v0, 0xffff, v0
	s_delay_alu instid0(VALU_DEP_2) | instskip(NEXT) | instid1(VALU_DEP_1)
	v_and_or_b32 v1, 0x8000, v3, v2
	v_lshl_or_b32 v2, v1, 16, v0
	v_add_co_u32 v0, vcc_lo, v8, s22
	s_wait_alu 0xfffd
	v_add_co_ci_u32_e32 v1, vcc_lo, s23, v9, vcc_lo
	global_store_b32 v[0:1], v2, off
.LBB0_23:
	s_nop 0
	s_sendmsg sendmsg(MSG_DEALLOC_VGPRS)
	s_endpgm
	.section	.rodata,"a",@progbits
	.p2align	6, 0x0
	.amdhsa_kernel bluestein_single_back_len715_dim1_half_op_CI_CI
		.amdhsa_group_segment_fixed_size 8580
		.amdhsa_private_segment_fixed_size 0
		.amdhsa_kernarg_size 104
		.amdhsa_user_sgpr_count 2
		.amdhsa_user_sgpr_dispatch_ptr 0
		.amdhsa_user_sgpr_queue_ptr 0
		.amdhsa_user_sgpr_kernarg_segment_ptr 1
		.amdhsa_user_sgpr_dispatch_id 0
		.amdhsa_user_sgpr_private_segment_size 0
		.amdhsa_wavefront_size32 1
		.amdhsa_uses_dynamic_stack 0
		.amdhsa_enable_private_segment 0
		.amdhsa_system_sgpr_workgroup_id_x 1
		.amdhsa_system_sgpr_workgroup_id_y 0
		.amdhsa_system_sgpr_workgroup_id_z 0
		.amdhsa_system_sgpr_workgroup_info 0
		.amdhsa_system_vgpr_workitem_id 0
		.amdhsa_next_free_vgpr 218
		.amdhsa_next_free_sgpr 26
		.amdhsa_reserve_vcc 1
		.amdhsa_float_round_mode_32 0
		.amdhsa_float_round_mode_16_64 0
		.amdhsa_float_denorm_mode_32 3
		.amdhsa_float_denorm_mode_16_64 3
		.amdhsa_fp16_overflow 0
		.amdhsa_workgroup_processor_mode 1
		.amdhsa_memory_ordered 1
		.amdhsa_forward_progress 0
		.amdhsa_round_robin_scheduling 0
		.amdhsa_exception_fp_ieee_invalid_op 0
		.amdhsa_exception_fp_denorm_src 0
		.amdhsa_exception_fp_ieee_div_zero 0
		.amdhsa_exception_fp_ieee_overflow 0
		.amdhsa_exception_fp_ieee_underflow 0
		.amdhsa_exception_fp_ieee_inexact 0
		.amdhsa_exception_int_div_zero 0
	.end_amdhsa_kernel
	.text
.Lfunc_end0:
	.size	bluestein_single_back_len715_dim1_half_op_CI_CI, .Lfunc_end0-bluestein_single_back_len715_dim1_half_op_CI_CI
                                        ; -- End function
	.section	.AMDGPU.csdata,"",@progbits
; Kernel info:
; codeLenInByte = 27700
; NumSgprs: 28
; NumVgprs: 218
; ScratchSize: 0
; MemoryBound: 0
; FloatMode: 240
; IeeeMode: 1
; LDSByteSize: 8580 bytes/workgroup (compile time only)
; SGPRBlocks: 3
; VGPRBlocks: 27
; NumSGPRsForWavesPerEU: 28
; NumVGPRsForWavesPerEU: 218
; Occupancy: 6
; WaveLimiterHint : 1
; COMPUTE_PGM_RSRC2:SCRATCH_EN: 0
; COMPUTE_PGM_RSRC2:USER_SGPR: 2
; COMPUTE_PGM_RSRC2:TRAP_HANDLER: 0
; COMPUTE_PGM_RSRC2:TGID_X_EN: 1
; COMPUTE_PGM_RSRC2:TGID_Y_EN: 0
; COMPUTE_PGM_RSRC2:TGID_Z_EN: 0
; COMPUTE_PGM_RSRC2:TIDIG_COMP_CNT: 0
	.text
	.p2alignl 7, 3214868480
	.fill 96, 4, 3214868480
	.type	__hip_cuid_41028605441da8e,@object ; @__hip_cuid_41028605441da8e
	.section	.bss,"aw",@nobits
	.globl	__hip_cuid_41028605441da8e
__hip_cuid_41028605441da8e:
	.byte	0                               ; 0x0
	.size	__hip_cuid_41028605441da8e, 1

	.ident	"AMD clang version 19.0.0git (https://github.com/RadeonOpenCompute/llvm-project roc-6.4.0 25133 c7fe45cf4b819c5991fe208aaa96edf142730f1d)"
	.section	".note.GNU-stack","",@progbits
	.addrsig
	.addrsig_sym __hip_cuid_41028605441da8e
	.amdgpu_metadata
---
amdhsa.kernels:
  - .args:
      - .actual_access:  read_only
        .address_space:  global
        .offset:         0
        .size:           8
        .value_kind:     global_buffer
      - .actual_access:  read_only
        .address_space:  global
        .offset:         8
        .size:           8
        .value_kind:     global_buffer
      - .actual_access:  read_only
        .address_space:  global
        .offset:         16
        .size:           8
        .value_kind:     global_buffer
      - .actual_access:  read_only
        .address_space:  global
        .offset:         24
        .size:           8
        .value_kind:     global_buffer
      - .actual_access:  read_only
        .address_space:  global
        .offset:         32
        .size:           8
        .value_kind:     global_buffer
      - .offset:         40
        .size:           8
        .value_kind:     by_value
      - .address_space:  global
        .offset:         48
        .size:           8
        .value_kind:     global_buffer
      - .address_space:  global
        .offset:         56
        .size:           8
        .value_kind:     global_buffer
      - .address_space:  global
        .offset:         64
        .size:           8
        .value_kind:     global_buffer
      - .address_space:  global
        .offset:         72
        .size:           8
        .value_kind:     global_buffer
      - .offset:         80
        .size:           4
        .value_kind:     by_value
      - .address_space:  global
        .offset:         88
        .size:           8
        .value_kind:     global_buffer
      - .address_space:  global
        .offset:         96
        .size:           8
        .value_kind:     global_buffer
    .group_segment_fixed_size: 8580
    .kernarg_segment_align: 8
    .kernarg_segment_size: 104
    .language:       OpenCL C
    .language_version:
      - 2
      - 0
    .max_flat_workgroup_size: 195
    .name:           bluestein_single_back_len715_dim1_half_op_CI_CI
    .private_segment_fixed_size: 0
    .sgpr_count:     28
    .sgpr_spill_count: 0
    .symbol:         bluestein_single_back_len715_dim1_half_op_CI_CI.kd
    .uniform_work_group_size: 1
    .uses_dynamic_stack: false
    .vgpr_count:     218
    .vgpr_spill_count: 0
    .wavefront_size: 32
    .workgroup_processor_mode: 1
amdhsa.target:   amdgcn-amd-amdhsa--gfx1201
amdhsa.version:
  - 1
  - 2
...

	.end_amdgpu_metadata
